;; amdgpu-corpus repo=ROCm/rccl kind=compiled arch=gfx942 opt=O3
	.text
	.amdgcn_target "amdgcn-amd-amdhsa--gfx942"
	.amdhsa_code_object_version 6
	.protected	_Z23ncclDevKernel_Generic_124ncclDevKernelArgsStorageILm4096EE ; -- Begin function _Z23ncclDevKernel_Generic_124ncclDevKernelArgsStorageILm4096EE
	.globl	_Z23ncclDevKernel_Generic_124ncclDevKernelArgsStorageILm4096EE
	.p2align	8
	.type	_Z23ncclDevKernel_Generic_124ncclDevKernelArgsStorageILm4096EE,@function
_Z23ncclDevKernel_Generic_124ncclDevKernelArgsStorageILm4096EE: ; @_Z23ncclDevKernel_Generic_124ncclDevKernelArgsStorageILm4096EE
; %bb.0:
	v_mov_b32_e32 v40, v0
	v_and_b32_e32 v15, 0x3ff, v40
	s_mov_b32 s33, s8
	s_mov_b32 s44, s7
	;; [unrolled: 1-line block ×3, first 2 shown]
	s_mov_b64 s[34:35], s[4:5]
	s_mov_b64 s[36:37], s[2:3]
	;; [unrolled: 1-line block ×3, first 2 shown]
	v_cmp_gt_u32_e32 vcc, 12, v15
	s_mov_b32 s32, 0
	s_and_saveexec_b64 s[0:1], vcc
	s_cbranch_execz .LBB0_2
; %bb.1:
	v_lshlrev_b32_e32 v0, 2, v15
	global_load_dword v1, v0, s[36:37]
	s_waitcnt vmcnt(0)
	ds_write_b32 v0, v1 offset:16448
.LBB0_2:
	s_or_b64 exec, exec, s[0:1]
	s_load_dword s14, s[36:37], 0x100c
	v_lshrrev_b32_e32 v16, 6, v15
	v_cmp_lt_i32_e32 vcc, 0, v16
	s_and_saveexec_b64 s[0:1], vcc
	s_xor_b64 s[0:1], exec, s[0:1]
	s_cbranch_execz .LBB0_16
; %bb.3:
	v_cmp_lt_i32_e32 vcc, 2, v16
	s_and_saveexec_b64 s[2:3], vcc
	s_xor_b64 s[2:3], exec, s[2:3]
	s_cbranch_execz .LBB0_8
; %bb.4:
	v_cmp_eq_u32_e32 vcc, 3, v16
	s_and_saveexec_b64 s[4:5], vcc
	s_cbranch_execz .LBB0_7
; %bb.5:
	s_movk_i32 s6, 0xc0
	v_cmp_eq_u32_e32 vcc, s6, v15
	s_and_b64 exec, exec, vcc
	s_cbranch_execz .LBB0_7
; %bb.6:
	v_mov_b32_e32 v0, 0
	ds_write_b32 v0, v0 offset:16500
.LBB0_7:
	s_or_b64 exec, exec, s[4:5]
.LBB0_8:
	s_andn2_saveexec_b64 s[2:3], s[2:3]
	s_cbranch_execz .LBB0_15
; %bb.9:
	v_cmp_eq_u32_e32 vcc, 1, v16
	s_and_saveexec_b64 s[4:5], vcc
	s_cbranch_execz .LBB0_14
; %bb.10:
	s_movk_i32 s6, 0x44
	v_cmp_gt_u32_e32 vcc, s6, v15
	s_and_b64 exec, exec, vcc
	s_cbranch_execz .LBB0_14
; %bb.11:
	v_cmp_eq_u32_e32 vcc, 64, v15
	s_and_saveexec_b64 s[6:7], vcc
	s_cbranch_execz .LBB0_13
; %bb.12:
	v_mov_b32_e32 v0, 0
	v_mov_b32_e32 v1, v0
	ds_write_b64 v0, v[0:1] offset:19736
.LBB0_13:
	s_or_b64 exec, exec, s[6:7]
	s_movk_i32 s6, 0x160
	v_mov_b32_e32 v0, 0xffffeb98
	v_mad_u32_u24 v2, v15, s6, v0
	v_mov_b32_e32 v0, 0
	v_mov_b32_e32 v1, v0
	ds_write_b64 v2, v[0:1]
.LBB0_14:
	s_or_b64 exec, exec, s[4:5]
.LBB0_15:
	s_or_b64 exec, exec, s[2:3]
.LBB0_16:
	s_andn2_saveexec_b64 s[0:1], s[0:1]
	s_cbranch_execz .LBB0_22
; %bb.17:
	s_load_dwordx2 s[4:5], s[36:37], 0x8
	v_lshlrev_b64 v[2:3], v15, 1
	s_mov_b64 s[2:3], 0
	v_lshl_add_u64 v[0:1], v[2:3], 0, -1
                                        ; implicit-def: $sgpr10
	s_waitcnt lgkmcnt(0)
	v_and_b32_e32 v5, s5, v3
	v_and_b32_e32 v4, s4, v2
	v_cmp_eq_u64_e64 s[8:9], 0, v[4:5]
	v_cmp_ne_u64_e32 vcc, 0, v[4:5]
	s_and_saveexec_b64 s[6:7], vcc
	s_cbranch_execz .LBB0_58
; %bb.18:
	v_and_b32_e32 v5, s4, v0
	v_and_b32_e32 v4, s5, v1
	v_bcnt_u32_b32 v5, v5, 0
	v_bcnt_u32_b32 v4, v4, v5
	v_cmp_ne_u32_e32 vcc, s45, v4
	s_andn2_b64 s[8:9], s[8:9], exec
	s_and_b64 s[12:13], vcc, exec
	s_mov_b64 s[2:3], exec
	s_mov_b32 s10, 0
	s_or_b64 s[8:9], s[8:9], s[12:13]
	s_or_b64 exec, exec, s[6:7]
	v_mov_b32_e32 v4, s10
	s_and_saveexec_b64 s[6:7], s[8:9]
	s_cbranch_execnz .LBB0_59
.LBB0_19:
	s_or_b64 exec, exec, s[6:7]
	s_and_saveexec_b64 s[4:5], s[2:3]
	s_cbranch_execz .LBB0_21
.LBB0_20:
	v_add_u32_e32 v0, v4, v15
	v_mov_b32_e32 v1, 0
	ds_write_b32 v1, v0 offset:16496
.LBB0_21:
	s_or_b64 exec, exec, s[4:5]
.LBB0_22:
	s_or_b64 exec, exec, s[0:1]
	v_cmp_eq_u32_e64 s[40:41], 0, v15
	s_waitcnt lgkmcnt(0)
	s_barrier
	s_and_saveexec_b64 s[0:1], s[40:41]
	s_cbranch_execz .LBB0_24
; %bb.23:
	v_mov_b32_e32 v4, 0
	ds_read_b32 v2, v4 offset:16496
	ds_read_b64 v[0:1], v4 offset:16448
	s_movk_i32 s2, 0x180
	s_waitcnt lgkmcnt(1)
	v_mul_hi_i32 v3, v2, s2
	v_mul_lo_u32 v2, v2, s2
	s_waitcnt lgkmcnt(0)
	v_lshl_add_u64 v[0:1], v[0:1], 0, v[2:3]
	flat_load_dwordx2 v[0:1], v[0:1] offset:464
	ds_write_b32 v4, v4 offset:16500
	s_waitcnt vmcnt(0) lgkmcnt(0)
	ds_write_b64 v4, v[0:1] offset:16976
.LBB0_24:
	s_or_b64 exec, exec, s[0:1]
	s_and_b32 s50, 0xffff, s14
	v_cmp_lt_i32_e32 vcc, 0, v16
	s_mov_b64 s[0:1], 0
                                        ; implicit-def: $vgpr0_vgpr1
                                        ; implicit-def: $vgpr2
	s_and_saveexec_b64 s[2:3], vcc
	s_xor_b64 s[4:5], exec, s[2:3]
	s_cbranch_execz .LBB0_54
; %bb.25:
	v_cmp_ne_u32_e32 vcc, 1, v16
	s_and_saveexec_b64 s[0:1], vcc
	s_xor_b64 s[6:7], exec, s[0:1]
	s_cbranch_execz .LBB0_62
; %bb.26:
	v_add_u32_e32 v19, 0xffffff80, v15
	v_ashrrev_i16_e32 v0, 15, v19
	v_lshrrev_b16_e32 v0, 10, v0
	v_add_u16_e32 v0, v19, v0
	v_and_b32_e32 v0, 0xffffffc0, v0
	v_sub_u16_e32 v17, v19, v0
	s_add_i32 s14, s50, 0xffffff80
	v_bfe_i32 v0, v17, 0, 16
	v_lshlrev_b64 v[8:9], v0, 1
	s_add_u32 s16, s36, 48
	s_movk_i32 s15, 0xffc0
	v_mul_u32_u24_e32 v18, 0x1010, v16
	v_lshl_add_u64 v[10:11], v[8:9], 0, -1
	s_addc_u32 s17, s37, 0
	s_mov_b32 s18, 0
	v_mov_b32_e32 v13, 0
	s_mov_b32 s8, s45
                                        ; implicit-def: $vgpr0_vgpr1_vgpr2_vgpr3
	s_branch .LBB0_29
.LBB0_27:                               ;   in Loop: Header=BB0_29 Depth=1
	s_or_b64 exec, exec, s[12:13]
	s_mov_b32 s11, s8
	v_mov_b32_e32 v4, v19
.LBB0_28:                               ;   in Loop: Header=BB0_29 Depth=1
	s_and_b64 vcc, exec, s[2:3]
	s_mov_b32 s8, s11
	v_mov_b32_e32 v19, v4
	s_cbranch_vccnz .LBB0_62
.LBB0_29:                               ; =>This Inner Loop Header: Depth=1
	s_ashr_i32 s9, s8, 31
	s_lshl_b64 s[0:1], s[8:9], 4
	s_add_u32 s0, s16, s0
	s_addc_u32 s1, s17, s1
	s_load_dwordx2 s[2:3], s[0:1], 0x8
	s_waitcnt lgkmcnt(0)
	v_and_b32_e32 v5, s3, v9
	v_and_b32_e32 v4, s2, v8
	v_cmp_ne_u64_e32 vcc, 0, v[4:5]
	s_and_saveexec_b64 s[10:11], vcc
	s_cbranch_execz .LBB0_31
; %bb.30:                               ;   in Loop: Header=BB0_29 Depth=1
	v_and_b32_e32 v5, s2, v10
	v_and_b32_e32 v4, s3, v11
	v_bcnt_u32_b32 v5, v5, 0
	v_bcnt_u32_b32 v4, v4, v5
	v_add_u32_e32 v4, v18, v4
	ds_write_b8 v4, v17
.LBB0_31:                               ;   in Loop: Header=BB0_29 Depth=1
	s_or_b64 exec, exec, s[10:11]
	s_load_dwordx2 s[10:11], s[0:1], 0x0
	s_bcnt1_i32_b64 s19, s[2:3]
	s_waitcnt lgkmcnt(0)
	s_bfe_u32 s9, s10, 0x2000f
	s_cmp_lt_i32 s9, 1
	s_cbranch_scc1 .LBB0_34
; %bb.32:                               ;   in Loop: Header=BB0_29 Depth=1
	s_cmp_lg_u32 s9, 1
	s_cbranch_scc0 .LBB0_35
; %bb.33:                               ;   in Loop: Header=BB0_29 Depth=1
	s_mov_b32 s21, 20
	v_mul_u32_u24_e64 v4, s19, 20
	s_movk_i32 s20, 0x140
	s_cbranch_execz .LBB0_36
	s_branch .LBB0_37
.LBB0_34:                               ;   in Loop: Header=BB0_29 Depth=1
                                        ; implicit-def: $vgpr4
                                        ; implicit-def: $sgpr20
                                        ; implicit-def: $sgpr21
	s_branch .LBB0_38
.LBB0_35:                               ;   in Loop: Header=BB0_29 Depth=1
                                        ; implicit-def: $vgpr4
                                        ; implicit-def: $sgpr20
                                        ; implicit-def: $sgpr21
.LBB0_36:                               ;   in Loop: Header=BB0_29 Depth=1
	s_lshl_b32 s0, s19, 3
	s_mov_b32 s21, 8
	s_movk_i32 s20, 0x80
	v_mov_b32_e32 v4, s0
.LBB0_37:                               ;   in Loop: Header=BB0_29 Depth=1
	s_cbranch_execnz .LBB0_39
.LBB0_38:                               ;   in Loop: Header=BB0_29 Depth=1
	s_lshl_b32 s0, s19, 2
	s_mov_b32 s20, 64
	s_mov_b32 s21, 4
	v_mov_b32_e32 v4, s0
.LBB0_39:                               ;   in Loop: Header=BB0_29 Depth=1
	v_cmp_eq_u32_e64 s[0:1], 0, v19
	s_and_saveexec_b64 s[2:3], s[0:1]
	s_cbranch_execz .LBB0_41
; %bb.40:                               ;   in Loop: Header=BB0_29 Depth=1
	v_mov_b32_e32 v5, s20
	ds_write_b32 v13, v5 offset:17008
	s_or_b64 exec, exec, s[2:3]
	v_cmp_lt_i32_e32 vcc, v19, v4
	s_and_saveexec_b64 s[12:13], vcc
	s_cbranch_execz .LBB0_49
	s_branch .LBB0_42
.LBB0_41:                               ;   in Loop: Header=BB0_29 Depth=1
	s_or_b64 exec, exec, s[2:3]
	v_cmp_lt_i32_e32 vcc, v19, v4
	s_and_saveexec_b64 s[12:13], vcc
	s_cbranch_execz .LBB0_49
.LBB0_42:                               ;   in Loop: Header=BB0_29 Depth=1
	v_cvt_f32_u32_e32 v4, s21
	s_sub_i32 s2, 0, s21
	v_sub_u32_e32 v6, 0, v19
	v_max_i32_e32 v6, v19, v6
	v_rcp_iflag_f32_e32 v4, v4
	v_ashrrev_i32_e32 v5, 31, v19
	v_mul_f32_e32 v4, 0x4f7ffffe, v4
	v_cvt_u32_f32_e32 v4, v4
	v_mul_lo_u32 v7, s2, v4
	v_mul_hi_u32 v7, v4, v7
	v_add_u32_e32 v4, v4, v7
	v_mul_hi_u32 v4, v6, v4
	v_mul_lo_u32 v7, v4, s21
	v_sub_u32_e32 v6, v6, v7
	v_add_u32_e32 v12, 1, v4
	v_cmp_le_u32_e32 vcc, s21, v6
	v_subrev_u32_e32 v7, s21, v6
	s_nop 0
	v_cndmask_b32_e32 v4, v4, v12, vcc
	v_cndmask_b32_e32 v6, v6, v7, vcc
	v_add_u32_e32 v7, 1, v4
	v_cmp_le_u32_e32 vcc, s21, v6
	s_nop 1
	v_cndmask_b32_e32 v4, v4, v7, vcc
	v_xor_b32_e32 v4, v4, v5
	v_sub_u32_e32 v20, v4, v5
	ds_read_u8 v5, v13 offset:16472
	v_add_u32_e32 v4, v18, v20
	ds_read_u8 v4, v4
	v_mul_lo_u32 v6, v20, s21
	v_sub_u32_e32 v21, v19, v6
	s_waitcnt lgkmcnt(1)
	v_cmp_ne_u16_e64 s[2:3], 0, v5
	s_and_b64 vcc, exec, s[2:3]
	s_cbranch_vccz .LBB0_45
; %bb.43:                               ;   in Loop: Header=BB0_29 Depth=1
	s_and_b64 vcc, exec, s[2:3]
	s_cbranch_vccz .LBB0_46
.LBB0_44:                               ;   in Loop: Header=BB0_29 Depth=1
	ds_read_b32 v5, v13 offset:16476
	ds_read_b64 v[6:7], v13 offset:16480
	s_waitcnt lgkmcnt(2)
	v_mul_u32_u24_e32 v4, s20, v4
	v_lshlrev_b32_e32 v14, 4, v21
	v_add3_u32 v4, v14, s11, v4
	s_waitcnt lgkmcnt(1)
	v_and_b32_e32 v12, v5, v4
	s_waitcnt lgkmcnt(0)
	v_lshl_add_u64 v[4:5], v[6:7], 0, v[12:13]
	flat_load_dwordx4 v[4:7], v[4:5]
	s_cbranch_execz .LBB0_47
	s_branch .LBB0_48
.LBB0_45:                               ;   in Loop: Header=BB0_29 Depth=1
	s_waitcnt lgkmcnt(0)
	v_mul_u32_u24_e32 v0, s20, v4
	v_lshlrev_b32_e32 v1, 4, v21
	v_add3_u32 v0, v1, s11, v0
	global_load_dwordx4 v[0:3], v0, s[36:37]
	s_and_b64 vcc, exec, s[2:3]
	s_cbranch_vccnz .LBB0_44
.LBB0_46:                               ;   in Loop: Header=BB0_29 Depth=1
                                        ; implicit-def: $vgpr4_vgpr5_vgpr6_vgpr7
                                        ; implicit-def: $vgpr14
.LBB0_47:                               ;   in Loop: Header=BB0_29 Depth=1
	s_waitcnt vmcnt(0) lgkmcnt(0)
	v_mov_b64_e32 v[6:7], v[2:3]
	v_lshlrev_b32_e32 v14, 4, v21
	v_mov_b64_e32 v[4:5], v[0:1]
.LBB0_48:                               ;   in Loop: Header=BB0_29 Depth=1
	s_waitcnt vmcnt(0)
	v_add_u32_e32 v0, s18, v20
	v_mad_u64_u32 v[0:1], s[2:3], v0, s20, v[14:15]
	s_waitcnt lgkmcnt(0)
	ds_write_b128 v0, v[4:7] offset:18704
	v_mov_b64_e32 v[0:1], v[4:5]
	v_mov_b64_e32 v[2:3], v[6:7]
.LBB0_49:                               ;   in Loop: Header=BB0_29 Depth=1
	s_or_b64 exec, exec, s[12:13]
	s_bitcmp0_b32 s10, 14
	s_cselect_b64 s[2:3], -1, 0
	s_and_b64 vcc, exec, s[2:3]
	s_cbranch_vccnz .LBB0_51
; %bb.50:                               ;   in Loop: Header=BB0_29 Depth=1
	v_mov_b32_e32 v4, s14
	v_cmp_gt_i32_e32 vcc, 64, v19
	s_and_b32 s11, s10, 0x3fff
	s_add_i32 s11, s11, s8
	v_cndmask_b32_e32 v4, 0, v4, vcc
	v_add3_u32 v4, v19, v4, s15
	s_add_i32 s18, s18, s19
	s_cbranch_execnz .LBB0_28
	s_branch .LBB0_52
.LBB0_51:                               ;   in Loop: Header=BB0_29 Depth=1
                                        ; implicit-def: $vgpr4
                                        ; implicit-def: $sgpr11
	s_add_i32 s18, s18, s19
.LBB0_52:                               ;   in Loop: Header=BB0_29 Depth=1
	s_and_saveexec_b64 s[12:13], s[0:1]
	s_cbranch_execz .LBB0_27
; %bb.53:                               ;   in Loop: Header=BB0_29 Depth=1
	s_and_b32 s0, s10, 0x3fff
	s_add_i32 s1, s0, s8
	s_cmp_lg_u32 s0, 0
	s_cselect_b32 s0, s1, -1
	v_mov_b32_e32 v4, s8
	v_mov_b32_e32 v5, s0
	ds_write_b64 v13, v[4:5] offset:16992
	v_mov_b32_e32 v4, s9
	ds_write_b8 v13, v4 offset:17000
	v_mov_b32_e32 v4, s18
	s_lshr_b32 s0, s10, 17
	ds_write_b32 v13, v4 offset:17004
	v_mov_b32_e32 v4, s0
	v_mov_b32_e32 v19, 0
	ds_write_b16 v13, v4 offset:17002
	s_branch .LBB0_27
.LBB0_54:
	s_andn2_saveexec_b64 s[2:3], s[4:5]
	s_cbranch_execz .LBB0_67
.LBB0_55:
	v_cmp_gt_u32_e32 vcc, 6, v15
	s_mov_b64 s[6:7], s[0:1]
                                        ; implicit-def: $vgpr0_vgpr1
                                        ; implicit-def: $vgpr2
	s_and_saveexec_b64 s[4:5], vcc
	s_cbranch_execz .LBB0_57
; %bb.56:
	v_mov_b32_e32 v1, 0
	ds_read_b64 v[4:5], v1 offset:16448
	v_lshlrev_b32_e32 v0, 4, v15
	v_add_u32_e32 v2, 0x4080, v0
	s_or_b64 s[6:7], s[0:1], exec
	s_waitcnt lgkmcnt(0)
	v_lshl_add_u64 v[0:1], v[4:5], 0, v[0:1]
.LBB0_57:
	s_or_b64 exec, exec, s[4:5]
	s_andn2_b64 s[0:1], s[0:1], exec
	s_and_b64 s[4:5], s[6:7], exec
	s_or_b64 s[0:1], s[0:1], s[4:5]
	s_or_b64 exec, exec, s[2:3]
	s_and_saveexec_b64 s[2:3], s[0:1]
	s_cbranch_execnz .LBB0_68
	s_branch .LBB0_69
.LBB0_58:
	s_or_b64 exec, exec, s[6:7]
	v_mov_b32_e32 v4, s10
	s_and_saveexec_b64 s[6:7], s[8:9]
	s_cbranch_execz .LBB0_19
.LBB0_59:
	s_load_dwordx2 s[12:13], s[36:37], 0x10
	s_mov_b64 s[8:9], 0
                                        ; implicit-def: $sgpr15
	s_waitcnt lgkmcnt(0)
	v_and_b32_e32 v3, s13, v3
	v_and_b32_e32 v2, s12, v2
	v_cmp_ne_u64_e32 vcc, 0, v[2:3]
	s_and_saveexec_b64 s[10:11], vcc
	s_xor_b64 s[10:11], exec, s[10:11]
; %bb.60:
	v_and_b32_e32 v0, s12, v0
	v_and_b32_e32 v1, s13, v1
	v_bcnt_u32_b32 v0, v0, 0
	s_bcnt1_i32_b64 s15, s[4:5]
	v_bcnt_u32_b32 v0, v1, v0
	v_add_u32_e32 v0, s15, v0
	v_cmp_eq_u32_e32 vcc, s45, v0
	s_and_b64 s[8:9], vcc, exec
; %bb.61:
	s_or_b64 exec, exec, s[10:11]
	s_andn2_b64 s[2:3], s[2:3], exec
	s_and_b64 s[4:5], s[8:9], exec
	v_mov_b32_e32 v4, s15
	s_or_b64 s[2:3], s[2:3], s[4:5]
	s_or_b64 exec, exec, s[6:7]
	s_and_saveexec_b64 s[4:5], s[2:3]
	s_cbranch_execnz .LBB0_20
	s_branch .LBB0_21
.LBB0_62:
	s_or_saveexec_b64 s[0:1], s[6:7]
	s_mov_b64 s[2:3], 0
                                        ; implicit-def: $vgpr0_vgpr1
                                        ; implicit-def: $vgpr2
	s_xor_b64 exec, exec, s[0:1]
	s_cbranch_execz .LBB0_66
; %bb.63:
	s_movk_i32 s2, 0x58
	v_cmp_gt_u32_e32 vcc, s2, v15
	s_mov_b64 s[2:3], 0
                                        ; implicit-def: $vgpr0_vgpr1
                                        ; implicit-def: $vgpr2
	s_and_saveexec_b64 s[6:7], vcc
	s_xor_b64 s[6:7], exec, s[6:7]
	s_cbranch_execz .LBB0_65
; %bb.64:
	v_mov_b32_e32 v0, 0
	ds_read_b32 v2, v0 offset:16496
	ds_read_b64 v[0:1], v0 offset:16448
	s_movk_i32 s8, 0x180
	v_lshlrev_b32_e32 v4, 4, v15
	s_mov_b64 s[2:3], exec
	s_waitcnt lgkmcnt(1)
	v_mul_hi_i32 v3, v2, s8
	v_mul_lo_u32 v2, v2, s8
	s_waitcnt lgkmcnt(0)
	v_lshl_add_u64 v[0:1], v[0:1], 0, v[2:3]
	s_mov_b64 s[8:9], 0x60
	v_add_u32_e32 v2, 0xfffffc00, v4
	v_lshl_add_u64 v[0:1], v[0:1], 0, s[8:9]
	v_ashrrev_i32_e32 v3, 31, v2
	v_lshl_add_u64 v[0:1], v[0:1], 0, v[2:3]
	v_add_u32_e32 v2, 0x3ce0, v4
.LBB0_65:
	s_or_b64 exec, exec, s[6:7]
	s_and_b64 s[2:3], s[2:3], exec
.LBB0_66:
	s_or_b64 exec, exec, s[0:1]
	s_and_b64 s[0:1], s[2:3], exec
	s_andn2_saveexec_b64 s[2:3], s[4:5]
	s_cbranch_execnz .LBB0_55
.LBB0_67:
	s_or_b64 exec, exec, s[2:3]
	s_and_saveexec_b64 s[2:3], s[0:1]
	s_cbranch_execz .LBB0_69
.LBB0_68:
	flat_load_dwordx2 v[4:5], v[0:1]
	s_waitcnt vmcnt(0) lgkmcnt(0)
	ds_write_b64 v2, v[4:5]
	flat_load_dwordx2 v[0:1], v[0:1] offset:8
	s_waitcnt vmcnt(0) lgkmcnt(0)
	ds_write_b64 v2, v[0:1] offset:8
.LBB0_69:
	s_or_b64 exec, exec, s[2:3]
	v_mov_b32_e32 v43, 0
	s_waitcnt lgkmcnt(0)
	s_barrier
	ds_read_b32 v0, v43 offset:16500
	s_waitcnt lgkmcnt(0)
	v_cmp_ne_u32_e32 vcc, 0, v0
	s_cbranch_vccz .LBB0_82
.LBB0_70:
	s_and_saveexec_b64 s[0:1], s[40:41]
	s_cbranch_execz .LBB0_81
; %bb.71:
	v_mov_b32_e32 v5, 0
	ds_read_b64 v[2:3], v5 offset:16976
	ds_read_b32 v6, v5 offset:17004
	s_waitcnt lgkmcnt(0)
	v_lshl_add_u64 v[0:1], v[2:3], 0, 1
	v_ashrrev_i32_e32 v7, 31, v6
	v_lshl_add_u64 v[8:9], v[2:3], 0, v[6:7]
	v_cmp_gt_u64_e32 vcc, v[0:1], v[8:9]
	s_cbranch_vccnz .LBB0_80
; %bb.72:
	ds_read_u8 v10, v5 offset:17000
	s_movk_i32 s2, 0x494e
	s_movk_i32 s3, 0x491a
	s_branch .LBB0_74
.LBB0_73:                               ;   in Loop: Header=BB0_74 Depth=1
	s_waitcnt lgkmcnt(0)
	v_ashrrev_i32_e32 v7, 31, v6
	v_lshl_add_u64 v[0:1], v[0:1], 0, 1
	v_lshl_add_u64 v[8:9], v[2:3], 0, v[6:7]
	v_cmp_le_u64_e32 vcc, v[0:1], v[8:9]
	s_add_i32 s2, s2, 64
	s_addk_i32 s3, 0x80
	s_cbranch_vccz .LBB0_80
.LBB0_74:                               ; =>This Inner Loop Header: Depth=1
	s_waitcnt lgkmcnt(0)
	v_cmp_ne_u16_sdwa s[0:1], v10, v5 src0_sel:BYTE_0 src1_sel:DWORD
	s_and_b64 vcc, exec, s[0:1]
	s_cbranch_vccz .LBB0_79
; %bb.75:                               ;   in Loop: Header=BB0_74 Depth=1
	v_mov_b32_e32 v4, s3
	ds_read_u8 v4, v4
	s_waitcnt lgkmcnt(0)
	v_and_b32_e32 v4, 1, v4
	s_cbranch_execnz .LBB0_77
.LBB0_76:                               ;   in Loop: Header=BB0_74 Depth=1
	v_mov_b32_e32 v4, s2
	ds_read_u16 v4, v4
	s_waitcnt lgkmcnt(0)
	v_bfe_u32 v4, v4, 6, 1
.LBB0_77:                               ;   in Loop: Header=BB0_74 Depth=1
	v_cmp_eq_u32_e32 vcc, 0, v4
	s_cbranch_vccnz .LBB0_73
; %bb.78:                               ;   in Loop: Header=BB0_74 Depth=1
	s_memrealtime s[0:1]
	ds_read_u8 v10, v5 offset:17000
	ds_read_b32 v2, v5 offset:16496
	ds_read_b64 v[6:7], v5 offset:16600
	v_and_b32_e32 v4, 63, v0
	v_lshlrev_b32_e32 v4, 4, v4
	s_waitcnt lgkmcnt(0)
	v_ashrrev_i32_e32 v3, 31, v2
	v_lshlrev_b64 v[2:3], 10, v[2:3]
	v_lshl_add_u64 v[2:3], v[6:7], 0, v[2:3]
	v_lshl_add_u64 v[6:7], v[2:3], 0, v[4:5]
	v_mov_b32_e32 v2, s0
	v_mov_b32_e32 v3, s1
	flat_store_dwordx4 v[6:7], v[0:3]
	ds_read_b64 v[2:3], v5 offset:16976
	ds_read_b32 v6, v5 offset:17004
	s_branch .LBB0_73
.LBB0_79:                               ;   in Loop: Header=BB0_74 Depth=1
                                        ; implicit-def: $vgpr4
	s_branch .LBB0_76
.LBB0_80:
	v_mov_b32_e32 v2, 0
	ds_read_b32 v4, v2 offset:16496
	ds_read_b64 v[0:1], v2 offset:16448
	s_movk_i32 s0, 0x180
	ds_write_b64 v2, v[8:9] offset:16976
	s_waitcnt lgkmcnt(0)
	v_mul_hi_i32 v3, v4, s0
	v_mul_lo_u32 v2, v4, s0
	v_lshl_add_u64 v[0:1], v[0:1], 0, v[2:3]
	flat_store_dwordx2 v[0:1], v[8:9] offset:464
.LBB0_81:
	s_endpgm
.LBB0_82:
	s_movk_i32 s0, 0x44
	v_cmp_eq_u32_e32 vcc, 1, v16
	v_cmp_gt_u32_e64 s[0:1], s0, v15
	s_and_b64 s[46:47], s[0:1], vcc
	s_movk_i32 s0, 0x160
	v_mov_b32_e32 v0, 0xffffeb98
	v_lshlrev_b64 v[44:45], v15, 1
	s_add_u32 s51, s36, 48
	v_cmp_eq_u32_e64 s[42:43], 64, v15
	v_mad_u32_u24 v41, v15, s0, v0
	v_and_b32_e32 v56, 63, v15
	v_mul_u32_u24_e32 v57, 0x1010, v16
	v_lshl_add_u64 v[46:47], v[44:45], 0, -1
	s_addc_u32 s52, s37, 0
	s_movk_i32 s53, 0x58
	s_movk_i32 s54, 0xffc0
	v_mov_b32_e32 v58, 0xb1
	v_mov_b32_e32 v59, 0xb0
	;; [unrolled: 1-line block ×20, first 2 shown]
	s_branch .LBB0_84
.LBB0_83:                               ;   in Loop: Header=BB0_84 Depth=1
	s_waitcnt lgkmcnt(0)
	s_barrier
	ds_read_b32 v0, v43 offset:16500
	s_waitcnt lgkmcnt(0)
	v_readfirstlane_b32 s0, v0
	s_cmp_lg_u32 s0, 0
	s_cselect_b64 s[0:1], -1, 0
	s_and_b64 vcc, exec, s[0:1]
	s_cbranch_vccnz .LBB0_70
.LBB0_84:                               ; =>This Loop Header: Depth=1
                                        ;     Child Loop BB0_88 Depth 2
                                        ;     Child Loop BB0_743 Depth 2
	;; [unrolled: 1-line block ×3, first 2 shown]
	s_and_saveexec_b64 s[0:1], s[40:41]
	s_cbranch_execz .LBB0_94
; %bb.85:                               ;   in Loop: Header=BB0_84 Depth=1
	ds_read_b64 v[2:3], v43 offset:16976
	ds_read_b32 v4, v43 offset:17004
	s_waitcnt lgkmcnt(0)
	v_lshl_add_u64 v[0:1], v[2:3], 0, 1
	s_waitcnt lgkmcnt(0)
	v_ashrrev_i32_e32 v5, 31, v4
	v_lshl_add_u64 v[6:7], v[2:3], 0, v[4:5]
	v_cmp_gt_u64_e32 vcc, v[0:1], v[6:7]
	s_cbranch_vccnz .LBB0_94
; %bb.86:                               ;   in Loop: Header=BB0_84 Depth=1
	ds_read_u8 v6, v43 offset:17000
	s_movk_i32 s4, 0x494e
	s_movk_i32 s5, 0x491a
	s_branch .LBB0_88
.LBB0_87:                               ;   in Loop: Header=BB0_88 Depth=2
	s_waitcnt lgkmcnt(0)
	v_ashrrev_i32_e32 v5, 31, v4
	v_lshl_add_u64 v[0:1], v[0:1], 0, 1
	v_lshl_add_u64 v[8:9], v[2:3], 0, v[4:5]
	v_cmp_le_u64_e32 vcc, v[0:1], v[8:9]
	s_add_i32 s4, s4, 64
	s_addk_i32 s5, 0x80
	s_cbranch_vccz .LBB0_94
.LBB0_88:                               ;   Parent Loop BB0_84 Depth=1
                                        ; =>  This Inner Loop Header: Depth=2
	s_waitcnt lgkmcnt(0)
	v_cmp_ne_u16_sdwa s[2:3], v6, v43 src0_sel:BYTE_0 src1_sel:DWORD
	s_and_b64 vcc, exec, s[2:3]
	s_cbranch_vccz .LBB0_93
; %bb.89:                               ;   in Loop: Header=BB0_88 Depth=2
	v_mov_b32_e32 v5, s5
	ds_read_u8 v5, v5
	s_waitcnt lgkmcnt(0)
	v_and_b32_e32 v5, 1, v5
	s_cbranch_execnz .LBB0_91
.LBB0_90:                               ;   in Loop: Header=BB0_88 Depth=2
	v_mov_b32_e32 v5, s4
	ds_read_u16 v5, v5
	s_waitcnt lgkmcnt(0)
	v_bfe_u32 v5, v5, 6, 1
.LBB0_91:                               ;   in Loop: Header=BB0_88 Depth=2
	v_cmp_eq_u32_e32 vcc, 0, v5
	s_cbranch_vccnz .LBB0_87
; %bb.92:                               ;   in Loop: Header=BB0_88 Depth=2
	s_memrealtime s[2:3]
	ds_read_u8 v6, v43 offset:17000
	ds_read_b32 v2, v43 offset:16496
	ds_read_b64 v[4:5], v43 offset:16592
	v_and_b32_e32 v7, 63, v0
	v_lshlrev_b32_e32 v42, 4, v7
	s_waitcnt lgkmcnt(0)
	v_ashrrev_i32_e32 v3, 31, v2
	v_lshlrev_b64 v[2:3], 10, v[2:3]
	v_lshl_add_u64 v[2:3], v[4:5], 0, v[2:3]
	v_lshl_add_u64 v[4:5], v[2:3], 0, v[42:43]
	v_mov_b32_e32 v2, s2
	v_mov_b32_e32 v3, s3
	flat_store_dwordx4 v[4:5], v[0:3]
	ds_read_b64 v[2:3], v43 offset:16976
	ds_read_b32 v4, v43 offset:17004
	s_branch .LBB0_87
.LBB0_93:                               ;   in Loop: Header=BB0_88 Depth=2
                                        ; implicit-def: $vgpr5
	s_branch .LBB0_90
.LBB0_94:                               ;   in Loop: Header=BB0_84 Depth=1
	s_or_b64 exec, exec, s[0:1]
	ds_read_u16 v0, v43 offset:17002
	s_mov_b64 s[0:1], -1
	s_waitcnt lgkmcnt(0)
	v_cmp_lt_u32_e32 vcc, s53, v0
	v_readfirstlane_b32 s55, v0
	s_cbranch_vccz .LBB0_423
; %bb.95:                               ;   in Loop: Header=BB0_84 Depth=1
	s_cmpk_gt_u32 s55, 0x85
	s_cbranch_scc0 .LBB0_260
; %bb.96:                               ;   in Loop: Header=BB0_84 Depth=1
	s_cmpk_gt_u32 s55, 0x9b
	s_cbranch_scc0 .LBB0_181
	;; [unrolled: 3-line block ×5, first 2 shown]
; %bb.100:                              ;   in Loop: Header=BB0_84 Depth=1
	v_cmp_lt_i16_e32 vcc, s55, v58
	s_mov_b64 s[2:3], -1
	s_mov_b64 s[48:49], 0
	s_mov_b64 s[0:1], 0
	s_cbranch_vccnz .LBB0_106
; %bb.101:                              ;   in Loop: Header=BB0_84 Depth=1
	v_cmp_eq_u16_e32 vcc, s55, v58
	s_mov_b64 s[0:1], -1
	s_cbranch_vccz .LBB0_103
; %bb.102:                              ;   in Loop: Header=BB0_84 Depth=1
	s_add_u32 s8, s36, 0x1000
	s_addc_u32 s9, s37, 0
	s_mov_b64 s[4:5], s[38:39]
	s_mov_b64 s[10:11], s[34:35]
	s_mov_b32 s12, s45
	s_mov_b32 s13, s44
	;; [unrolled: 1-line block ×3, first 2 shown]
	v_mov_b32_e32 v31, v40
	s_getpc_b64 s[0:1]
	s_add_u32 s0, s0, _Z45ncclDevFunc_SendRecv_RING_SIMPLE_Sum_i8_0_0_1v@rel32@lo+4
	s_addc_u32 s1, s1, _Z45ncclDevFunc_SendRecv_RING_SIMPLE_Sum_i8_0_0_1v@rel32@hi+12
	s_swappc_b64 s[30:31], s[0:1]
	s_mov_b64 s[0:1], 0
.LBB0_103:                              ;   in Loop: Header=BB0_84 Depth=1
.LBB0_104:                              ;   in Loop: Header=BB0_84 Depth=1
	s_andn2_b64 vcc, exec, s[0:1]
	s_cbranch_vccnz .LBB0_108
.LBB0_105:                              ;   in Loop: Header=BB0_84 Depth=1
	s_add_u32 s8, s36, 0x1000
	s_addc_u32 s9, s37, 0
	s_mov_b64 s[4:5], s[38:39]
	s_mov_b64 s[10:11], s[34:35]
	s_mov_b32 s12, s45
	s_mov_b32 s13, s44
	;; [unrolled: 1-line block ×3, first 2 shown]
	v_mov_b32_e32 v31, v40
	s_getpc_b64 s[0:1]
	s_add_u32 s0, s0, _Z50ncclDevFunc_AlltoAllPivot_RING_SIMPLE_Sum_i8_0_0_1v@rel32@lo+4
	s_addc_u32 s1, s1, _Z50ncclDevFunc_AlltoAllPivot_RING_SIMPLE_Sum_i8_0_0_1v@rel32@hi+12
	s_swappc_b64 s[30:31], s[0:1]
	s_cbranch_execz .LBB0_109
	s_branch .LBB0_110
.LBB0_106:                              ;   in Loop: Header=BB0_84 Depth=1
	s_and_b64 vcc, exec, s[2:3]
	s_cbranch_vccz .LBB0_104
; %bb.107:                              ;   in Loop: Header=BB0_84 Depth=1
	v_cmp_ne_u16_e64 s[0:1], s55, v59
	s_mov_b64 s[48:49], -1
	s_andn2_b64 vcc, exec, s[0:1]
	s_cbranch_vccz .LBB0_105
.LBB0_108:                              ;   in Loop: Header=BB0_84 Depth=1
	s_andn2_b64 vcc, exec, s[48:49]
	s_cbranch_vccnz .LBB0_110
.LBB0_109:                              ;   in Loop: Header=BB0_84 Depth=1
	s_add_u32 s8, s36, 0x1000
	s_addc_u32 s9, s37, 0
	s_mov_b64 s[4:5], s[38:39]
	s_mov_b64 s[10:11], s[34:35]
	s_mov_b32 s12, s45
	s_mov_b32 s13, s44
	;; [unrolled: 1-line block ×3, first 2 shown]
	v_mov_b32_e32 v31, v40
	s_getpc_b64 s[0:1]
	s_add_u32 s0, s0, _Z54ncclDevFunc_AllReduce_RING_SIMPLE_SumPostDiv_u64_1_0_1v@rel32@lo+4
	s_addc_u32 s1, s1, _Z54ncclDevFunc_AllReduce_RING_SIMPLE_SumPostDiv_u64_1_0_1v@rel32@hi+12
	s_swappc_b64 s[30:31], s[0:1]
.LBB0_110:                              ;   in Loop: Header=BB0_84 Depth=1
	s_mov_b64 s[0:1], 0
.LBB0_111:                              ;   in Loop: Header=BB0_84 Depth=1
	s_and_b64 vcc, exec, s[0:1]
	s_cbranch_vccz .LBB0_120
; %bb.112:                              ;   in Loop: Header=BB0_84 Depth=1
	v_mov_b32_e32 v0, 0xae
	v_cmp_lt_i16_sdwa s[2:3], s55, v0 src0_sel:BYTE_0 src1_sel:DWORD
	s_mov_b64 s[0:1], -1
	s_and_b64 vcc, exec, s[2:3]
	s_cbranch_vccnz .LBB0_118
; %bb.113:                              ;   in Loop: Header=BB0_84 Depth=1
	v_cmp_ne_u16_sdwa s[2:3], s55, v0 src0_sel:BYTE_0 src1_sel:DWORD
	s_and_b64 vcc, exec, s[2:3]
	s_cbranch_vccz .LBB0_115
; %bb.114:                              ;   in Loop: Header=BB0_84 Depth=1
	s_add_u32 s8, s36, 0x1000
	s_addc_u32 s9, s37, 0
	s_mov_b64 s[4:5], s[38:39]
	s_mov_b64 s[10:11], s[34:35]
	s_mov_b32 s12, s45
	s_mov_b32 s13, s44
	;; [unrolled: 1-line block ×3, first 2 shown]
	v_mov_b32_e32 v31, v40
	s_getpc_b64 s[0:1]
	s_add_u32 s0, s0, _Z54ncclDevFunc_AllReduce_RING_SIMPLE_SumPostDiv_u64_0_0_1v@rel32@lo+4
	s_addc_u32 s1, s1, _Z54ncclDevFunc_AllReduce_RING_SIMPLE_SumPostDiv_u64_0_0_1v@rel32@hi+12
	s_swappc_b64 s[30:31], s[0:1]
	s_mov_b64 s[0:1], 0
.LBB0_115:                              ;   in Loop: Header=BB0_84 Depth=1
	s_andn2_b64 vcc, exec, s[0:1]
	s_cbranch_vccnz .LBB0_117
; %bb.116:                              ;   in Loop: Header=BB0_84 Depth=1
	s_add_u32 s8, s36, 0x1000
	s_addc_u32 s9, s37, 0
	s_mov_b64 s[4:5], s[38:39]
	s_mov_b64 s[10:11], s[34:35]
	s_mov_b32 s12, s45
	s_mov_b32 s13, s44
	;; [unrolled: 1-line block ×3, first 2 shown]
	v_mov_b32_e32 v31, v40
	s_getpc_b64 s[0:1]
	s_add_u32 s0, s0, _Z54ncclDevFunc_AllReduce_RING_SIMPLE_SumPostDiv_u32_1_0_1v@rel32@lo+4
	s_addc_u32 s1, s1, _Z54ncclDevFunc_AllReduce_RING_SIMPLE_SumPostDiv_u32_1_0_1v@rel32@hi+12
	s_swappc_b64 s[30:31], s[0:1]
.LBB0_117:                              ;   in Loop: Header=BB0_84 Depth=1
	s_mov_b64 s[0:1], 0
.LBB0_118:                              ;   in Loop: Header=BB0_84 Depth=1
	s_andn2_b64 vcc, exec, s[0:1]
	s_cbranch_vccnz .LBB0_120
; %bb.119:                              ;   in Loop: Header=BB0_84 Depth=1
	s_add_u32 s8, s36, 0x1000
	s_addc_u32 s9, s37, 0
	s_mov_b64 s[4:5], s[38:39]
	s_mov_b64 s[10:11], s[34:35]
	s_mov_b32 s12, s45
	s_mov_b32 s13, s44
	;; [unrolled: 1-line block ×3, first 2 shown]
	v_mov_b32_e32 v31, v40
	s_getpc_b64 s[0:1]
	s_add_u32 s0, s0, _Z54ncclDevFunc_AllReduce_RING_SIMPLE_SumPostDiv_u32_0_0_1v@rel32@lo+4
	s_addc_u32 s1, s1, _Z54ncclDevFunc_AllReduce_RING_SIMPLE_SumPostDiv_u32_0_0_1v@rel32@hi+12
	s_swappc_b64 s[30:31], s[0:1]
.LBB0_120:                              ;   in Loop: Header=BB0_84 Depth=1
	s_mov_b64 s[0:1], 0
.LBB0_121:                              ;   in Loop: Header=BB0_84 Depth=1
	s_andn2_b64 vcc, exec, s[0:1]
	s_cbranch_vccnz .LBB0_141
; %bb.122:                              ;   in Loop: Header=BB0_84 Depth=1
	s_cmpk_gt_u32 s55, 0xa9
	s_mov_b64 s[0:1], -1
	s_cbranch_scc0 .LBB0_132
; %bb.123:                              ;   in Loop: Header=BB0_84 Depth=1
	v_mov_b32_e32 v0, 0xab
	v_cmp_lt_i16_sdwa s[2:3], s55, v0 src0_sel:BYTE_0 src1_sel:DWORD
	s_and_b64 vcc, exec, s[2:3]
	s_cbranch_vccnz .LBB0_129
; %bb.124:                              ;   in Loop: Header=BB0_84 Depth=1
	v_cmp_ne_u16_sdwa s[2:3], s55, v0 src0_sel:BYTE_0 src1_sel:DWORD
	s_and_b64 vcc, exec, s[2:3]
	s_cbranch_vccz .LBB0_126
; %bb.125:                              ;   in Loop: Header=BB0_84 Depth=1
	s_add_u32 s8, s36, 0x1000
	s_addc_u32 s9, s37, 0
	s_mov_b64 s[4:5], s[38:39]
	s_mov_b64 s[10:11], s[34:35]
	s_mov_b32 s12, s45
	s_mov_b32 s13, s44
	;; [unrolled: 1-line block ×3, first 2 shown]
	v_mov_b32_e32 v31, v40
	s_getpc_b64 s[0:1]
	s_add_u32 s0, s0, _Z53ncclDevFunc_AllReduce_RING_SIMPLE_SumPostDiv_u8_1_0_1v@rel32@lo+4
	s_addc_u32 s1, s1, _Z53ncclDevFunc_AllReduce_RING_SIMPLE_SumPostDiv_u8_1_0_1v@rel32@hi+12
	s_swappc_b64 s[30:31], s[0:1]
	s_mov_b64 s[0:1], 0
.LBB0_126:                              ;   in Loop: Header=BB0_84 Depth=1
	s_andn2_b64 vcc, exec, s[0:1]
	s_cbranch_vccnz .LBB0_128
; %bb.127:                              ;   in Loop: Header=BB0_84 Depth=1
	s_add_u32 s8, s36, 0x1000
	s_addc_u32 s9, s37, 0
	s_mov_b64 s[4:5], s[38:39]
	s_mov_b64 s[10:11], s[34:35]
	s_mov_b32 s12, s45
	s_mov_b32 s13, s44
	;; [unrolled: 1-line block ×3, first 2 shown]
	v_mov_b32_e32 v31, v40
	s_getpc_b64 s[0:1]
	s_add_u32 s0, s0, _Z53ncclDevFunc_AllReduce_RING_SIMPLE_SumPostDiv_u8_0_0_1v@rel32@lo+4
	s_addc_u32 s1, s1, _Z53ncclDevFunc_AllReduce_RING_SIMPLE_SumPostDiv_u8_0_0_1v@rel32@hi+12
	s_swappc_b64 s[30:31], s[0:1]
.LBB0_128:                              ;   in Loop: Header=BB0_84 Depth=1
	s_mov_b64 s[0:1], 0
.LBB0_129:                              ;   in Loop: Header=BB0_84 Depth=1
	s_andn2_b64 vcc, exec, s[0:1]
	s_cbranch_vccnz .LBB0_131
; %bb.130:                              ;   in Loop: Header=BB0_84 Depth=1
	s_add_u32 s8, s36, 0x1000
	s_addc_u32 s9, s37, 0
	s_mov_b64 s[4:5], s[38:39]
	s_mov_b64 s[10:11], s[34:35]
	s_mov_b32 s12, s45
	s_mov_b32 s13, s44
	s_mov_b32 s14, s33
	v_mov_b32_e32 v31, v40
	s_getpc_b64 s[0:1]
	s_add_u32 s0, s0, _Z56ncclDevFunc_AllReduce_RING_SIMPLE_PreMulSum_f8e5m2_1_0_1v@rel32@lo+4
	s_addc_u32 s1, s1, _Z56ncclDevFunc_AllReduce_RING_SIMPLE_PreMulSum_f8e5m2_1_0_1v@rel32@hi+12
	s_swappc_b64 s[30:31], s[0:1]
.LBB0_131:                              ;   in Loop: Header=BB0_84 Depth=1
	s_mov_b64 s[0:1], 0
.LBB0_132:                              ;   in Loop: Header=BB0_84 Depth=1
	s_and_b64 vcc, exec, s[0:1]
	s_cbranch_vccz .LBB0_141
; %bb.133:                              ;   in Loop: Header=BB0_84 Depth=1
	v_mov_b32_e32 v0, 0xa8
	v_cmp_lt_i16_sdwa s[2:3], s55, v0 src0_sel:BYTE_0 src1_sel:DWORD
	s_mov_b64 s[0:1], -1
	s_and_b64 vcc, exec, s[2:3]
	s_cbranch_vccnz .LBB0_139
; %bb.134:                              ;   in Loop: Header=BB0_84 Depth=1
	v_cmp_ne_u16_sdwa s[2:3], s55, v0 src0_sel:BYTE_0 src1_sel:DWORD
	s_and_b64 vcc, exec, s[2:3]
	s_cbranch_vccz .LBB0_136
; %bb.135:                              ;   in Loop: Header=BB0_84 Depth=1
	s_add_u32 s8, s36, 0x1000
	s_addc_u32 s9, s37, 0
	s_mov_b64 s[4:5], s[38:39]
	s_mov_b64 s[10:11], s[34:35]
	s_mov_b32 s12, s45
	s_mov_b32 s13, s44
	s_mov_b32 s14, s33
	v_mov_b32_e32 v31, v40
	s_getpc_b64 s[0:1]
	s_add_u32 s0, s0, _Z56ncclDevFunc_AllReduce_RING_SIMPLE_PreMulSum_f8e5m2_0_0_1v@rel32@lo+4
	s_addc_u32 s1, s1, _Z56ncclDevFunc_AllReduce_RING_SIMPLE_PreMulSum_f8e5m2_0_0_1v@rel32@hi+12
	s_swappc_b64 s[30:31], s[0:1]
	s_mov_b64 s[0:1], 0
.LBB0_136:                              ;   in Loop: Header=BB0_84 Depth=1
	s_andn2_b64 vcc, exec, s[0:1]
	s_cbranch_vccnz .LBB0_138
; %bb.137:                              ;   in Loop: Header=BB0_84 Depth=1
	s_add_u32 s8, s36, 0x1000
	s_addc_u32 s9, s37, 0
	s_mov_b64 s[4:5], s[38:39]
	s_mov_b64 s[10:11], s[34:35]
	s_mov_b32 s12, s45
	s_mov_b32 s13, s44
	s_mov_b32 s14, s33
	v_mov_b32_e32 v31, v40
	s_getpc_b64 s[0:1]
	s_add_u32 s0, s0, _Z56ncclDevFunc_AllReduce_RING_SIMPLE_PreMulSum_f8e4m3_1_0_1v@rel32@lo+4
	s_addc_u32 s1, s1, _Z56ncclDevFunc_AllReduce_RING_SIMPLE_PreMulSum_f8e4m3_1_0_1v@rel32@hi+12
	s_swappc_b64 s[30:31], s[0:1]
.LBB0_138:                              ;   in Loop: Header=BB0_84 Depth=1
	s_mov_b64 s[0:1], 0
.LBB0_139:                              ;   in Loop: Header=BB0_84 Depth=1
	s_andn2_b64 vcc, exec, s[0:1]
	s_cbranch_vccnz .LBB0_141
; %bb.140:                              ;   in Loop: Header=BB0_84 Depth=1
	s_add_u32 s8, s36, 0x1000
	s_addc_u32 s9, s37, 0
	s_mov_b64 s[4:5], s[38:39]
	s_mov_b64 s[10:11], s[34:35]
	s_mov_b32 s12, s45
	s_mov_b32 s13, s44
	;; [unrolled: 1-line block ×3, first 2 shown]
	v_mov_b32_e32 v31, v40
	s_getpc_b64 s[0:1]
	s_add_u32 s0, s0, _Z56ncclDevFunc_AllReduce_RING_SIMPLE_PreMulSum_f8e4m3_0_0_1v@rel32@lo+4
	s_addc_u32 s1, s1, _Z56ncclDevFunc_AllReduce_RING_SIMPLE_PreMulSum_f8e4m3_0_0_1v@rel32@hi+12
	s_swappc_b64 s[30:31], s[0:1]
.LBB0_141:                              ;   in Loop: Header=BB0_84 Depth=1
	s_mov_b64 s[0:1], 0
.LBB0_142:                              ;   in Loop: Header=BB0_84 Depth=1
	s_andn2_b64 vcc, exec, s[0:1]
	s_cbranch_vccnz .LBB0_180
; %bb.143:                              ;   in Loop: Header=BB0_84 Depth=1
	s_cmpk_gt_u32 s55, 0xa0
	s_mov_b64 s[0:1], -1
	s_cbranch_scc0 .LBB0_164
; %bb.144:                              ;   in Loop: Header=BB0_84 Depth=1
	s_cmpk_gt_u32 s55, 0xa3
	s_cbranch_scc0 .LBB0_154
; %bb.145:                              ;   in Loop: Header=BB0_84 Depth=1
	v_mov_b32_e32 v0, 0xa5
	v_cmp_lt_i16_sdwa s[2:3], s55, v0 src0_sel:BYTE_0 src1_sel:DWORD
	s_and_b64 vcc, exec, s[2:3]
	s_cbranch_vccnz .LBB0_151
; %bb.146:                              ;   in Loop: Header=BB0_84 Depth=1
	v_cmp_ne_u16_sdwa s[2:3], s55, v0 src0_sel:BYTE_0 src1_sel:DWORD
	s_and_b64 vcc, exec, s[2:3]
	s_cbranch_vccz .LBB0_148
; %bb.147:                              ;   in Loop: Header=BB0_84 Depth=1
	s_add_u32 s8, s36, 0x1000
	s_addc_u32 s9, s37, 0
	s_mov_b64 s[4:5], s[38:39]
	s_mov_b64 s[10:11], s[34:35]
	s_mov_b32 s12, s45
	s_mov_b32 s13, s44
	;; [unrolled: 1-line block ×3, first 2 shown]
	v_mov_b32_e32 v31, v40
	s_getpc_b64 s[0:1]
	s_add_u32 s0, s0, _Z54ncclDevFunc_AllReduce_RING_SIMPLE_PreMulSum_bf16_1_1_1v@rel32@lo+4
	s_addc_u32 s1, s1, _Z54ncclDevFunc_AllReduce_RING_SIMPLE_PreMulSum_bf16_1_1_1v@rel32@hi+12
	s_swappc_b64 s[30:31], s[0:1]
	s_mov_b64 s[0:1], 0
.LBB0_148:                              ;   in Loop: Header=BB0_84 Depth=1
	s_andn2_b64 vcc, exec, s[0:1]
	s_cbranch_vccnz .LBB0_150
; %bb.149:                              ;   in Loop: Header=BB0_84 Depth=1
	s_add_u32 s8, s36, 0x1000
	s_addc_u32 s9, s37, 0
	s_mov_b64 s[4:5], s[38:39]
	s_mov_b64 s[10:11], s[34:35]
	s_mov_b32 s12, s45
	s_mov_b32 s13, s44
	;; [unrolled: 1-line block ×3, first 2 shown]
	v_mov_b32_e32 v31, v40
	s_getpc_b64 s[0:1]
	s_add_u32 s0, s0, _Z54ncclDevFunc_AllReduce_RING_SIMPLE_PreMulSum_bf16_1_0_1v@rel32@lo+4
	s_addc_u32 s1, s1, _Z54ncclDevFunc_AllReduce_RING_SIMPLE_PreMulSum_bf16_1_0_1v@rel32@hi+12
	s_swappc_b64 s[30:31], s[0:1]
.LBB0_150:                              ;   in Loop: Header=BB0_84 Depth=1
	s_mov_b64 s[0:1], 0
.LBB0_151:                              ;   in Loop: Header=BB0_84 Depth=1
	s_andn2_b64 vcc, exec, s[0:1]
	s_cbranch_vccnz .LBB0_153
; %bb.152:                              ;   in Loop: Header=BB0_84 Depth=1
	s_add_u32 s8, s36, 0x1000
	s_addc_u32 s9, s37, 0
	s_mov_b64 s[4:5], s[38:39]
	s_mov_b64 s[10:11], s[34:35]
	s_mov_b32 s12, s45
	s_mov_b32 s13, s44
	;; [unrolled: 1-line block ×3, first 2 shown]
	v_mov_b32_e32 v31, v40
	s_getpc_b64 s[0:1]
	s_add_u32 s0, s0, _Z54ncclDevFunc_AllReduce_RING_SIMPLE_PreMulSum_bf16_0_1_1v@rel32@lo+4
	s_addc_u32 s1, s1, _Z54ncclDevFunc_AllReduce_RING_SIMPLE_PreMulSum_bf16_0_1_1v@rel32@hi+12
	s_swappc_b64 s[30:31], s[0:1]
.LBB0_153:                              ;   in Loop: Header=BB0_84 Depth=1
	s_mov_b64 s[0:1], 0
.LBB0_154:                              ;   in Loop: Header=BB0_84 Depth=1
	s_and_b64 vcc, exec, s[0:1]
	s_cbranch_vccz .LBB0_163
; %bb.155:                              ;   in Loop: Header=BB0_84 Depth=1
	v_mov_b32_e32 v0, 0xa2
	v_cmp_lt_i16_sdwa s[2:3], s55, v0 src0_sel:BYTE_0 src1_sel:DWORD
	s_mov_b64 s[0:1], -1
	s_and_b64 vcc, exec, s[2:3]
	s_cbranch_vccnz .LBB0_161
; %bb.156:                              ;   in Loop: Header=BB0_84 Depth=1
	v_cmp_ne_u16_sdwa s[2:3], s55, v0 src0_sel:BYTE_0 src1_sel:DWORD
	s_and_b64 vcc, exec, s[2:3]
	s_cbranch_vccz .LBB0_158
; %bb.157:                              ;   in Loop: Header=BB0_84 Depth=1
	s_add_u32 s8, s36, 0x1000
	s_addc_u32 s9, s37, 0
	s_mov_b64 s[4:5], s[38:39]
	s_mov_b64 s[10:11], s[34:35]
	s_mov_b32 s12, s45
	s_mov_b32 s13, s44
	;; [unrolled: 1-line block ×3, first 2 shown]
	v_mov_b32_e32 v31, v40
	s_getpc_b64 s[0:1]
	s_add_u32 s0, s0, _Z54ncclDevFunc_AllReduce_RING_SIMPLE_PreMulSum_bf16_0_0_1v@rel32@lo+4
	s_addc_u32 s1, s1, _Z54ncclDevFunc_AllReduce_RING_SIMPLE_PreMulSum_bf16_0_0_1v@rel32@hi+12
	s_swappc_b64 s[30:31], s[0:1]
	s_mov_b64 s[0:1], 0
.LBB0_158:                              ;   in Loop: Header=BB0_84 Depth=1
	s_andn2_b64 vcc, exec, s[0:1]
	s_cbranch_vccnz .LBB0_160
; %bb.159:                              ;   in Loop: Header=BB0_84 Depth=1
	s_add_u32 s8, s36, 0x1000
	s_addc_u32 s9, s37, 0
	s_mov_b64 s[4:5], s[38:39]
	s_mov_b64 s[10:11], s[34:35]
	s_mov_b32 s12, s45
	s_mov_b32 s13, s44
	;; [unrolled: 1-line block ×3, first 2 shown]
	v_mov_b32_e32 v31, v40
	s_getpc_b64 s[0:1]
	s_add_u32 s0, s0, _Z53ncclDevFunc_AllReduce_RING_SIMPLE_PreMulSum_f64_1_0_1v@rel32@lo+4
	s_addc_u32 s1, s1, _Z53ncclDevFunc_AllReduce_RING_SIMPLE_PreMulSum_f64_1_0_1v@rel32@hi+12
	s_swappc_b64 s[30:31], s[0:1]
.LBB0_160:                              ;   in Loop: Header=BB0_84 Depth=1
	s_mov_b64 s[0:1], 0
.LBB0_161:                              ;   in Loop: Header=BB0_84 Depth=1
	s_andn2_b64 vcc, exec, s[0:1]
	s_cbranch_vccnz .LBB0_163
; %bb.162:                              ;   in Loop: Header=BB0_84 Depth=1
	s_add_u32 s8, s36, 0x1000
	s_addc_u32 s9, s37, 0
	s_mov_b64 s[4:5], s[38:39]
	s_mov_b64 s[10:11], s[34:35]
	s_mov_b32 s12, s45
	s_mov_b32 s13, s44
	;; [unrolled: 1-line block ×3, first 2 shown]
	v_mov_b32_e32 v31, v40
	s_getpc_b64 s[0:1]
	s_add_u32 s0, s0, _Z53ncclDevFunc_AllReduce_RING_SIMPLE_PreMulSum_f64_0_0_1v@rel32@lo+4
	s_addc_u32 s1, s1, _Z53ncclDevFunc_AllReduce_RING_SIMPLE_PreMulSum_f64_0_0_1v@rel32@hi+12
	s_swappc_b64 s[30:31], s[0:1]
.LBB0_163:                              ;   in Loop: Header=BB0_84 Depth=1
	s_mov_b64 s[0:1], 0
.LBB0_164:                              ;   in Loop: Header=BB0_84 Depth=1
	s_andn2_b64 vcc, exec, s[0:1]
	s_cbranch_vccnz .LBB0_180
; %bb.165:                              ;   in Loop: Header=BB0_84 Depth=1
	s_cmpk_gt_u32 s55, 0x9d
	s_mov_b64 s[0:1], -1
	s_cbranch_scc0 .LBB0_175
; %bb.166:                              ;   in Loop: Header=BB0_84 Depth=1
	v_mov_b32_e32 v0, 0x9f
	v_cmp_lt_i16_sdwa s[2:3], s55, v0 src0_sel:BYTE_0 src1_sel:DWORD
	s_and_b64 vcc, exec, s[2:3]
	s_cbranch_vccnz .LBB0_172
; %bb.167:                              ;   in Loop: Header=BB0_84 Depth=1
	v_cmp_ne_u16_sdwa s[2:3], s55, v0 src0_sel:BYTE_0 src1_sel:DWORD
	s_and_b64 vcc, exec, s[2:3]
	s_cbranch_vccz .LBB0_169
; %bb.168:                              ;   in Loop: Header=BB0_84 Depth=1
	s_add_u32 s8, s36, 0x1000
	s_addc_u32 s9, s37, 0
	s_mov_b64 s[4:5], s[38:39]
	s_mov_b64 s[10:11], s[34:35]
	s_mov_b32 s12, s45
	s_mov_b32 s13, s44
	;; [unrolled: 1-line block ×3, first 2 shown]
	v_mov_b32_e32 v31, v40
	s_getpc_b64 s[0:1]
	s_add_u32 s0, s0, _Z53ncclDevFunc_AllReduce_RING_SIMPLE_PreMulSum_f32_1_0_1v@rel32@lo+4
	s_addc_u32 s1, s1, _Z53ncclDevFunc_AllReduce_RING_SIMPLE_PreMulSum_f32_1_0_1v@rel32@hi+12
	s_swappc_b64 s[30:31], s[0:1]
	s_mov_b64 s[0:1], 0
.LBB0_169:                              ;   in Loop: Header=BB0_84 Depth=1
	s_andn2_b64 vcc, exec, s[0:1]
	s_cbranch_vccnz .LBB0_171
; %bb.170:                              ;   in Loop: Header=BB0_84 Depth=1
	s_add_u32 s8, s36, 0x1000
	s_addc_u32 s9, s37, 0
	s_mov_b64 s[4:5], s[38:39]
	s_mov_b64 s[10:11], s[34:35]
	s_mov_b32 s12, s45
	s_mov_b32 s13, s44
	;; [unrolled: 1-line block ×3, first 2 shown]
	v_mov_b32_e32 v31, v40
	s_getpc_b64 s[0:1]
	s_add_u32 s0, s0, _Z53ncclDevFunc_AllReduce_RING_SIMPLE_PreMulSum_f32_0_0_1v@rel32@lo+4
	s_addc_u32 s1, s1, _Z53ncclDevFunc_AllReduce_RING_SIMPLE_PreMulSum_f32_0_0_1v@rel32@hi+12
	s_swappc_b64 s[30:31], s[0:1]
.LBB0_171:                              ;   in Loop: Header=BB0_84 Depth=1
	s_mov_b64 s[0:1], 0
.LBB0_172:                              ;   in Loop: Header=BB0_84 Depth=1
	s_andn2_b64 vcc, exec, s[0:1]
	s_cbranch_vccnz .LBB0_174
; %bb.173:                              ;   in Loop: Header=BB0_84 Depth=1
	s_add_u32 s8, s36, 0x1000
	s_addc_u32 s9, s37, 0
	s_mov_b64 s[4:5], s[38:39]
	s_mov_b64 s[10:11], s[34:35]
	s_mov_b32 s12, s45
	s_mov_b32 s13, s44
	;; [unrolled: 1-line block ×3, first 2 shown]
	v_mov_b32_e32 v31, v40
	s_getpc_b64 s[0:1]
	s_add_u32 s0, s0, _Z53ncclDevFunc_AllReduce_RING_SIMPLE_PreMulSum_f16_1_0_1v@rel32@lo+4
	s_addc_u32 s1, s1, _Z53ncclDevFunc_AllReduce_RING_SIMPLE_PreMulSum_f16_1_0_1v@rel32@hi+12
	s_swappc_b64 s[30:31], s[0:1]
.LBB0_174:                              ;   in Loop: Header=BB0_84 Depth=1
	s_mov_b64 s[0:1], 0
.LBB0_175:                              ;   in Loop: Header=BB0_84 Depth=1
	s_and_b64 vcc, exec, s[0:1]
	s_cbranch_vccz .LBB0_180
; %bb.176:                              ;   in Loop: Header=BB0_84 Depth=1
	s_cmpk_eq_i32 s55, 0x9d
	s_mov_b64 s[0:1], -1
	s_cbranch_scc1 .LBB0_178
; %bb.177:                              ;   in Loop: Header=BB0_84 Depth=1
	s_add_u32 s8, s36, 0x1000
	s_addc_u32 s9, s37, 0
	s_mov_b64 s[4:5], s[38:39]
	s_mov_b64 s[10:11], s[34:35]
	s_mov_b32 s12, s45
	s_mov_b32 s13, s44
	;; [unrolled: 1-line block ×3, first 2 shown]
	v_mov_b32_e32 v31, v40
	s_getpc_b64 s[0:1]
	s_add_u32 s0, s0, _Z53ncclDevFunc_AllReduce_RING_SIMPLE_PreMulSum_u64_1_0_1v@rel32@lo+4
	s_addc_u32 s1, s1, _Z53ncclDevFunc_AllReduce_RING_SIMPLE_PreMulSum_u64_1_0_1v@rel32@hi+12
	s_swappc_b64 s[30:31], s[0:1]
	s_mov_b64 s[0:1], 0
.LBB0_178:                              ;   in Loop: Header=BB0_84 Depth=1
	s_andn2_b64 vcc, exec, s[0:1]
	s_cbranch_vccnz .LBB0_180
; %bb.179:                              ;   in Loop: Header=BB0_84 Depth=1
	s_add_u32 s8, s36, 0x1000
	s_addc_u32 s9, s37, 0
	s_mov_b64 s[4:5], s[38:39]
	s_mov_b64 s[10:11], s[34:35]
	s_mov_b32 s12, s45
	s_mov_b32 s13, s44
	;; [unrolled: 1-line block ×3, first 2 shown]
	v_mov_b32_e32 v31, v40
	s_getpc_b64 s[0:1]
	s_add_u32 s0, s0, _Z53ncclDevFunc_AllReduce_RING_SIMPLE_PreMulSum_f16_0_0_1v@rel32@lo+4
	s_addc_u32 s1, s1, _Z53ncclDevFunc_AllReduce_RING_SIMPLE_PreMulSum_f16_0_0_1v@rel32@hi+12
	s_swappc_b64 s[30:31], s[0:1]
.LBB0_180:                              ;   in Loop: Header=BB0_84 Depth=1
	s_mov_b64 s[0:1], 0
.LBB0_181:                              ;   in Loop: Header=BB0_84 Depth=1
	s_andn2_b64 vcc, exec, s[0:1]
	s_cbranch_vccnz .LBB0_259
; %bb.182:                              ;   in Loop: Header=BB0_84 Depth=1
	s_cmpk_gt_u32 s55, 0x90
	s_mov_b64 s[0:1], -1
	s_cbranch_scc0 .LBB0_221
; %bb.183:                              ;   in Loop: Header=BB0_84 Depth=1
	s_cmpk_gt_u32 s55, 0x95
	s_cbranch_scc0 .LBB0_204
; %bb.184:                              ;   in Loop: Header=BB0_84 Depth=1
	s_cmpk_gt_u32 s55, 0x98
	s_cbranch_scc0 .LBB0_194
; %bb.185:                              ;   in Loop: Header=BB0_84 Depth=1
	v_mov_b32_e32 v0, 0x9a
	v_cmp_lt_i16_sdwa s[2:3], s55, v0 src0_sel:BYTE_0 src1_sel:DWORD
	s_and_b64 vcc, exec, s[2:3]
	s_cbranch_vccnz .LBB0_191
; %bb.186:                              ;   in Loop: Header=BB0_84 Depth=1
	v_cmp_ne_u16_sdwa s[2:3], s55, v0 src0_sel:BYTE_0 src1_sel:DWORD
	s_and_b64 vcc, exec, s[2:3]
	s_cbranch_vccz .LBB0_188
; %bb.187:                              ;   in Loop: Header=BB0_84 Depth=1
	s_add_u32 s8, s36, 0x1000
	s_addc_u32 s9, s37, 0
	s_mov_b64 s[4:5], s[38:39]
	s_mov_b64 s[10:11], s[34:35]
	s_mov_b32 s12, s45
	s_mov_b32 s13, s44
	;; [unrolled: 1-line block ×3, first 2 shown]
	v_mov_b32_e32 v31, v40
	s_getpc_b64 s[0:1]
	s_add_u32 s0, s0, _Z53ncclDevFunc_AllReduce_RING_SIMPLE_PreMulSum_u64_0_0_1v@rel32@lo+4
	s_addc_u32 s1, s1, _Z53ncclDevFunc_AllReduce_RING_SIMPLE_PreMulSum_u64_0_0_1v@rel32@hi+12
	s_swappc_b64 s[30:31], s[0:1]
	s_mov_b64 s[0:1], 0
.LBB0_188:                              ;   in Loop: Header=BB0_84 Depth=1
	s_andn2_b64 vcc, exec, s[0:1]
	s_cbranch_vccnz .LBB0_190
; %bb.189:                              ;   in Loop: Header=BB0_84 Depth=1
	s_add_u32 s8, s36, 0x1000
	s_addc_u32 s9, s37, 0
	s_mov_b64 s[4:5], s[38:39]
	s_mov_b64 s[10:11], s[34:35]
	s_mov_b32 s12, s45
	s_mov_b32 s13, s44
	;; [unrolled: 1-line block ×3, first 2 shown]
	v_mov_b32_e32 v31, v40
	s_getpc_b64 s[0:1]
	s_add_u32 s0, s0, _Z53ncclDevFunc_AllReduce_RING_SIMPLE_PreMulSum_u32_1_0_1v@rel32@lo+4
	s_addc_u32 s1, s1, _Z53ncclDevFunc_AllReduce_RING_SIMPLE_PreMulSum_u32_1_0_1v@rel32@hi+12
	s_swappc_b64 s[30:31], s[0:1]
.LBB0_190:                              ;   in Loop: Header=BB0_84 Depth=1
	s_mov_b64 s[0:1], 0
.LBB0_191:                              ;   in Loop: Header=BB0_84 Depth=1
	s_andn2_b64 vcc, exec, s[0:1]
	s_cbranch_vccnz .LBB0_193
; %bb.192:                              ;   in Loop: Header=BB0_84 Depth=1
	s_add_u32 s8, s36, 0x1000
	s_addc_u32 s9, s37, 0
	s_mov_b64 s[4:5], s[38:39]
	s_mov_b64 s[10:11], s[34:35]
	s_mov_b32 s12, s45
	s_mov_b32 s13, s44
	;; [unrolled: 1-line block ×3, first 2 shown]
	v_mov_b32_e32 v31, v40
	s_getpc_b64 s[0:1]
	s_add_u32 s0, s0, _Z53ncclDevFunc_AllReduce_RING_SIMPLE_PreMulSum_u32_0_0_1v@rel32@lo+4
	s_addc_u32 s1, s1, _Z53ncclDevFunc_AllReduce_RING_SIMPLE_PreMulSum_u32_0_0_1v@rel32@hi+12
	s_swappc_b64 s[30:31], s[0:1]
.LBB0_193:                              ;   in Loop: Header=BB0_84 Depth=1
	s_mov_b64 s[0:1], 0
.LBB0_194:                              ;   in Loop: Header=BB0_84 Depth=1
	s_and_b64 vcc, exec, s[0:1]
	s_cbranch_vccz .LBB0_203
; %bb.195:                              ;   in Loop: Header=BB0_84 Depth=1
	v_mov_b32_e32 v0, 0x97
	v_cmp_lt_i16_sdwa s[2:3], s55, v0 src0_sel:BYTE_0 src1_sel:DWORD
	s_mov_b64 s[0:1], -1
	s_and_b64 vcc, exec, s[2:3]
	s_cbranch_vccnz .LBB0_201
; %bb.196:                              ;   in Loop: Header=BB0_84 Depth=1
	v_cmp_ne_u16_sdwa s[2:3], s55, v0 src0_sel:BYTE_0 src1_sel:DWORD
	s_and_b64 vcc, exec, s[2:3]
	s_cbranch_vccz .LBB0_198
; %bb.197:                              ;   in Loop: Header=BB0_84 Depth=1
	s_add_u32 s8, s36, 0x1000
	s_addc_u32 s9, s37, 0
	s_mov_b64 s[4:5], s[38:39]
	s_mov_b64 s[10:11], s[34:35]
	s_mov_b32 s12, s45
	s_mov_b32 s13, s44
	;; [unrolled: 1-line block ×3, first 2 shown]
	v_mov_b32_e32 v31, v40
	s_getpc_b64 s[0:1]
	s_add_u32 s0, s0, _Z52ncclDevFunc_AllReduce_RING_SIMPLE_PreMulSum_u8_1_0_1v@rel32@lo+4
	s_addc_u32 s1, s1, _Z52ncclDevFunc_AllReduce_RING_SIMPLE_PreMulSum_u8_1_0_1v@rel32@hi+12
	s_swappc_b64 s[30:31], s[0:1]
	s_mov_b64 s[0:1], 0
.LBB0_198:                              ;   in Loop: Header=BB0_84 Depth=1
	s_andn2_b64 vcc, exec, s[0:1]
	s_cbranch_vccnz .LBB0_200
; %bb.199:                              ;   in Loop: Header=BB0_84 Depth=1
	s_add_u32 s8, s36, 0x1000
	s_addc_u32 s9, s37, 0
	s_mov_b64 s[4:5], s[38:39]
	s_mov_b64 s[10:11], s[34:35]
	s_mov_b32 s12, s45
	s_mov_b32 s13, s44
	;; [unrolled: 1-line block ×3, first 2 shown]
	v_mov_b32_e32 v31, v40
	s_getpc_b64 s[0:1]
	s_add_u32 s0, s0, _Z52ncclDevFunc_AllReduce_RING_SIMPLE_PreMulSum_u8_0_0_1v@rel32@lo+4
	s_addc_u32 s1, s1, _Z52ncclDevFunc_AllReduce_RING_SIMPLE_PreMulSum_u8_0_0_1v@rel32@hi+12
	s_swappc_b64 s[30:31], s[0:1]
.LBB0_200:                              ;   in Loop: Header=BB0_84 Depth=1
	s_mov_b64 s[0:1], 0
.LBB0_201:                              ;   in Loop: Header=BB0_84 Depth=1
	s_andn2_b64 vcc, exec, s[0:1]
	s_cbranch_vccnz .LBB0_203
; %bb.202:                              ;   in Loop: Header=BB0_84 Depth=1
	s_add_u32 s8, s36, 0x1000
	s_addc_u32 s9, s37, 0
	s_mov_b64 s[4:5], s[38:39]
	s_mov_b64 s[10:11], s[34:35]
	s_mov_b32 s12, s45
	s_mov_b32 s13, s44
	;; [unrolled: 1-line block ×3, first 2 shown]
	v_mov_b32_e32 v31, v40
	s_getpc_b64 s[0:1]
	s_add_u32 s0, s0, _Z53ncclDevFunc_AllReduce_RING_SIMPLE_MinMax_f8e5m2_1_0_1v@rel32@lo+4
	s_addc_u32 s1, s1, _Z53ncclDevFunc_AllReduce_RING_SIMPLE_MinMax_f8e5m2_1_0_1v@rel32@hi+12
	s_swappc_b64 s[30:31], s[0:1]
.LBB0_203:                              ;   in Loop: Header=BB0_84 Depth=1
	s_mov_b64 s[0:1], 0
.LBB0_204:                              ;   in Loop: Header=BB0_84 Depth=1
	s_andn2_b64 vcc, exec, s[0:1]
	s_cbranch_vccnz .LBB0_220
; %bb.205:                              ;   in Loop: Header=BB0_84 Depth=1
	s_cmpk_gt_u32 s55, 0x92
	s_mov_b64 s[0:1], -1
	s_cbranch_scc0 .LBB0_215
; %bb.206:                              ;   in Loop: Header=BB0_84 Depth=1
	v_mov_b32_e32 v0, 0x94
	v_cmp_lt_i16_sdwa s[2:3], s55, v0 src0_sel:BYTE_0 src1_sel:DWORD
	s_and_b64 vcc, exec, s[2:3]
	s_cbranch_vccnz .LBB0_212
; %bb.207:                              ;   in Loop: Header=BB0_84 Depth=1
	v_cmp_ne_u16_sdwa s[2:3], s55, v0 src0_sel:BYTE_0 src1_sel:DWORD
	s_and_b64 vcc, exec, s[2:3]
	s_cbranch_vccz .LBB0_209
; %bb.208:                              ;   in Loop: Header=BB0_84 Depth=1
	s_add_u32 s8, s36, 0x1000
	s_addc_u32 s9, s37, 0
	s_mov_b64 s[4:5], s[38:39]
	s_mov_b64 s[10:11], s[34:35]
	s_mov_b32 s12, s45
	s_mov_b32 s13, s44
	;; [unrolled: 1-line block ×3, first 2 shown]
	v_mov_b32_e32 v31, v40
	s_getpc_b64 s[0:1]
	s_add_u32 s0, s0, _Z53ncclDevFunc_AllReduce_RING_SIMPLE_MinMax_f8e5m2_0_0_1v@rel32@lo+4
	s_addc_u32 s1, s1, _Z53ncclDevFunc_AllReduce_RING_SIMPLE_MinMax_f8e5m2_0_0_1v@rel32@hi+12
	s_swappc_b64 s[30:31], s[0:1]
	s_mov_b64 s[0:1], 0
.LBB0_209:                              ;   in Loop: Header=BB0_84 Depth=1
	s_andn2_b64 vcc, exec, s[0:1]
	s_cbranch_vccnz .LBB0_211
; %bb.210:                              ;   in Loop: Header=BB0_84 Depth=1
	s_add_u32 s8, s36, 0x1000
	s_addc_u32 s9, s37, 0
	s_mov_b64 s[4:5], s[38:39]
	s_mov_b64 s[10:11], s[34:35]
	s_mov_b32 s12, s45
	s_mov_b32 s13, s44
	s_mov_b32 s14, s33
	v_mov_b32_e32 v31, v40
	s_getpc_b64 s[0:1]
	s_add_u32 s0, s0, _Z53ncclDevFunc_AllReduce_RING_SIMPLE_MinMax_f8e4m3_1_0_1v@rel32@lo+4
	s_addc_u32 s1, s1, _Z53ncclDevFunc_AllReduce_RING_SIMPLE_MinMax_f8e4m3_1_0_1v@rel32@hi+12
	s_swappc_b64 s[30:31], s[0:1]
.LBB0_211:                              ;   in Loop: Header=BB0_84 Depth=1
	s_mov_b64 s[0:1], 0
.LBB0_212:                              ;   in Loop: Header=BB0_84 Depth=1
	s_andn2_b64 vcc, exec, s[0:1]
	s_cbranch_vccnz .LBB0_214
; %bb.213:                              ;   in Loop: Header=BB0_84 Depth=1
	s_add_u32 s8, s36, 0x1000
	s_addc_u32 s9, s37, 0
	s_mov_b64 s[4:5], s[38:39]
	s_mov_b64 s[10:11], s[34:35]
	s_mov_b32 s12, s45
	s_mov_b32 s13, s44
	;; [unrolled: 1-line block ×3, first 2 shown]
	v_mov_b32_e32 v31, v40
	s_getpc_b64 s[0:1]
	s_add_u32 s0, s0, _Z53ncclDevFunc_AllReduce_RING_SIMPLE_MinMax_f8e4m3_0_0_1v@rel32@lo+4
	s_addc_u32 s1, s1, _Z53ncclDevFunc_AllReduce_RING_SIMPLE_MinMax_f8e4m3_0_0_1v@rel32@hi+12
	s_swappc_b64 s[30:31], s[0:1]
.LBB0_214:                              ;   in Loop: Header=BB0_84 Depth=1
	s_mov_b64 s[0:1], 0
.LBB0_215:                              ;   in Loop: Header=BB0_84 Depth=1
	s_and_b64 vcc, exec, s[0:1]
	s_cbranch_vccz .LBB0_220
; %bb.216:                              ;   in Loop: Header=BB0_84 Depth=1
	s_cmpk_eq_i32 s55, 0x92
	s_mov_b64 s[0:1], -1
	s_cbranch_scc1 .LBB0_218
; %bb.217:                              ;   in Loop: Header=BB0_84 Depth=1
	s_add_u32 s8, s36, 0x1000
	s_addc_u32 s9, s37, 0
	s_mov_b64 s[4:5], s[38:39]
	s_mov_b64 s[10:11], s[34:35]
	s_mov_b32 s12, s45
	s_mov_b32 s13, s44
	;; [unrolled: 1-line block ×3, first 2 shown]
	v_mov_b32_e32 v31, v40
	s_getpc_b64 s[0:1]
	s_add_u32 s0, s0, _Z51ncclDevFunc_AllReduce_RING_SIMPLE_MinMax_bf16_1_0_1v@rel32@lo+4
	s_addc_u32 s1, s1, _Z51ncclDevFunc_AllReduce_RING_SIMPLE_MinMax_bf16_1_0_1v@rel32@hi+12
	s_swappc_b64 s[30:31], s[0:1]
	s_mov_b64 s[0:1], 0
.LBB0_218:                              ;   in Loop: Header=BB0_84 Depth=1
	s_andn2_b64 vcc, exec, s[0:1]
	s_cbranch_vccnz .LBB0_220
; %bb.219:                              ;   in Loop: Header=BB0_84 Depth=1
	s_add_u32 s8, s36, 0x1000
	s_addc_u32 s9, s37, 0
	s_mov_b64 s[4:5], s[38:39]
	s_mov_b64 s[10:11], s[34:35]
	s_mov_b32 s12, s45
	s_mov_b32 s13, s44
	;; [unrolled: 1-line block ×3, first 2 shown]
	v_mov_b32_e32 v31, v40
	s_getpc_b64 s[0:1]
	s_add_u32 s0, s0, _Z51ncclDevFunc_AllReduce_RING_SIMPLE_MinMax_bf16_1_1_1v@rel32@lo+4
	s_addc_u32 s1, s1, _Z51ncclDevFunc_AllReduce_RING_SIMPLE_MinMax_bf16_1_1_1v@rel32@hi+12
	s_swappc_b64 s[30:31], s[0:1]
.LBB0_220:                              ;   in Loop: Header=BB0_84 Depth=1
	s_mov_b64 s[0:1], 0
.LBB0_221:                              ;   in Loop: Header=BB0_84 Depth=1
	s_andn2_b64 vcc, exec, s[0:1]
	s_cbranch_vccnz .LBB0_259
; %bb.222:                              ;   in Loop: Header=BB0_84 Depth=1
	s_cmpk_gt_u32 s55, 0x8a
	s_mov_b64 s[0:1], -1
	s_cbranch_scc0 .LBB0_243
; %bb.223:                              ;   in Loop: Header=BB0_84 Depth=1
	s_cmpk_gt_u32 s55, 0x8d
	s_cbranch_scc0 .LBB0_233
; %bb.224:                              ;   in Loop: Header=BB0_84 Depth=1
	v_mov_b32_e32 v0, 0x8f
	v_cmp_lt_i16_sdwa s[2:3], s55, v0 src0_sel:BYTE_0 src1_sel:DWORD
	s_and_b64 vcc, exec, s[2:3]
	s_cbranch_vccnz .LBB0_230
; %bb.225:                              ;   in Loop: Header=BB0_84 Depth=1
	v_cmp_ne_u16_sdwa s[2:3], s55, v0 src0_sel:BYTE_0 src1_sel:DWORD
	s_and_b64 vcc, exec, s[2:3]
	s_cbranch_vccz .LBB0_227
; %bb.226:                              ;   in Loop: Header=BB0_84 Depth=1
	s_add_u32 s8, s36, 0x1000
	s_addc_u32 s9, s37, 0
	s_mov_b64 s[4:5], s[38:39]
	s_mov_b64 s[10:11], s[34:35]
	s_mov_b32 s12, s45
	s_mov_b32 s13, s44
	;; [unrolled: 1-line block ×3, first 2 shown]
	v_mov_b32_e32 v31, v40
	s_getpc_b64 s[0:1]
	s_add_u32 s0, s0, _Z51ncclDevFunc_AllReduce_RING_SIMPLE_MinMax_bf16_0_1_1v@rel32@lo+4
	s_addc_u32 s1, s1, _Z51ncclDevFunc_AllReduce_RING_SIMPLE_MinMax_bf16_0_1_1v@rel32@hi+12
	s_swappc_b64 s[30:31], s[0:1]
	s_mov_b64 s[0:1], 0
.LBB0_227:                              ;   in Loop: Header=BB0_84 Depth=1
	s_andn2_b64 vcc, exec, s[0:1]
	s_cbranch_vccnz .LBB0_229
; %bb.228:                              ;   in Loop: Header=BB0_84 Depth=1
	s_add_u32 s8, s36, 0x1000
	s_addc_u32 s9, s37, 0
	s_mov_b64 s[4:5], s[38:39]
	s_mov_b64 s[10:11], s[34:35]
	s_mov_b32 s12, s45
	s_mov_b32 s13, s44
	s_mov_b32 s14, s33
	v_mov_b32_e32 v31, v40
	s_getpc_b64 s[0:1]
	s_add_u32 s0, s0, _Z51ncclDevFunc_AllReduce_RING_SIMPLE_MinMax_bf16_0_0_1v@rel32@lo+4
	s_addc_u32 s1, s1, _Z51ncclDevFunc_AllReduce_RING_SIMPLE_MinMax_bf16_0_0_1v@rel32@hi+12
	s_swappc_b64 s[30:31], s[0:1]
.LBB0_229:                              ;   in Loop: Header=BB0_84 Depth=1
	s_mov_b64 s[0:1], 0
.LBB0_230:                              ;   in Loop: Header=BB0_84 Depth=1
	s_andn2_b64 vcc, exec, s[0:1]
	s_cbranch_vccnz .LBB0_232
; %bb.231:                              ;   in Loop: Header=BB0_84 Depth=1
	s_add_u32 s8, s36, 0x1000
	s_addc_u32 s9, s37, 0
	s_mov_b64 s[4:5], s[38:39]
	s_mov_b64 s[10:11], s[34:35]
	s_mov_b32 s12, s45
	s_mov_b32 s13, s44
	;; [unrolled: 1-line block ×3, first 2 shown]
	v_mov_b32_e32 v31, v40
	s_getpc_b64 s[0:1]
	s_add_u32 s0, s0, _Z50ncclDevFunc_AllReduce_RING_SIMPLE_MinMax_f64_1_0_1v@rel32@lo+4
	s_addc_u32 s1, s1, _Z50ncclDevFunc_AllReduce_RING_SIMPLE_MinMax_f64_1_0_1v@rel32@hi+12
	s_swappc_b64 s[30:31], s[0:1]
.LBB0_232:                              ;   in Loop: Header=BB0_84 Depth=1
	s_mov_b64 s[0:1], 0
.LBB0_233:                              ;   in Loop: Header=BB0_84 Depth=1
	s_and_b64 vcc, exec, s[0:1]
	s_cbranch_vccz .LBB0_242
; %bb.234:                              ;   in Loop: Header=BB0_84 Depth=1
	v_mov_b32_e32 v0, 0x8c
	v_cmp_lt_i16_sdwa s[2:3], s55, v0 src0_sel:BYTE_0 src1_sel:DWORD
	s_mov_b64 s[0:1], -1
	s_and_b64 vcc, exec, s[2:3]
	s_cbranch_vccnz .LBB0_240
; %bb.235:                              ;   in Loop: Header=BB0_84 Depth=1
	v_cmp_ne_u16_sdwa s[2:3], s55, v0 src0_sel:BYTE_0 src1_sel:DWORD
	s_and_b64 vcc, exec, s[2:3]
	s_cbranch_vccz .LBB0_237
; %bb.236:                              ;   in Loop: Header=BB0_84 Depth=1
	s_add_u32 s8, s36, 0x1000
	s_addc_u32 s9, s37, 0
	s_mov_b64 s[4:5], s[38:39]
	s_mov_b64 s[10:11], s[34:35]
	s_mov_b32 s12, s45
	s_mov_b32 s13, s44
	;; [unrolled: 1-line block ×3, first 2 shown]
	v_mov_b32_e32 v31, v40
	s_getpc_b64 s[0:1]
	s_add_u32 s0, s0, _Z50ncclDevFunc_AllReduce_RING_SIMPLE_MinMax_f64_0_0_1v@rel32@lo+4
	s_addc_u32 s1, s1, _Z50ncclDevFunc_AllReduce_RING_SIMPLE_MinMax_f64_0_0_1v@rel32@hi+12
	s_swappc_b64 s[30:31], s[0:1]
	s_mov_b64 s[0:1], 0
.LBB0_237:                              ;   in Loop: Header=BB0_84 Depth=1
	s_andn2_b64 vcc, exec, s[0:1]
	s_cbranch_vccnz .LBB0_239
; %bb.238:                              ;   in Loop: Header=BB0_84 Depth=1
	s_add_u32 s8, s36, 0x1000
	s_addc_u32 s9, s37, 0
	s_mov_b64 s[4:5], s[38:39]
	s_mov_b64 s[10:11], s[34:35]
	s_mov_b32 s12, s45
	s_mov_b32 s13, s44
	;; [unrolled: 1-line block ×3, first 2 shown]
	v_mov_b32_e32 v31, v40
	s_getpc_b64 s[0:1]
	s_add_u32 s0, s0, _Z50ncclDevFunc_AllReduce_RING_SIMPLE_MinMax_f32_1_0_1v@rel32@lo+4
	s_addc_u32 s1, s1, _Z50ncclDevFunc_AllReduce_RING_SIMPLE_MinMax_f32_1_0_1v@rel32@hi+12
	s_swappc_b64 s[30:31], s[0:1]
.LBB0_239:                              ;   in Loop: Header=BB0_84 Depth=1
	s_mov_b64 s[0:1], 0
.LBB0_240:                              ;   in Loop: Header=BB0_84 Depth=1
	s_andn2_b64 vcc, exec, s[0:1]
	s_cbranch_vccnz .LBB0_242
; %bb.241:                              ;   in Loop: Header=BB0_84 Depth=1
	s_add_u32 s8, s36, 0x1000
	s_addc_u32 s9, s37, 0
	s_mov_b64 s[4:5], s[38:39]
	s_mov_b64 s[10:11], s[34:35]
	s_mov_b32 s12, s45
	s_mov_b32 s13, s44
	;; [unrolled: 1-line block ×3, first 2 shown]
	v_mov_b32_e32 v31, v40
	s_getpc_b64 s[0:1]
	s_add_u32 s0, s0, _Z50ncclDevFunc_AllReduce_RING_SIMPLE_MinMax_f32_0_0_1v@rel32@lo+4
	s_addc_u32 s1, s1, _Z50ncclDevFunc_AllReduce_RING_SIMPLE_MinMax_f32_0_0_1v@rel32@hi+12
	s_swappc_b64 s[30:31], s[0:1]
.LBB0_242:                              ;   in Loop: Header=BB0_84 Depth=1
	s_mov_b64 s[0:1], 0
.LBB0_243:                              ;   in Loop: Header=BB0_84 Depth=1
	s_andn2_b64 vcc, exec, s[0:1]
	s_cbranch_vccnz .LBB0_259
; %bb.244:                              ;   in Loop: Header=BB0_84 Depth=1
	s_cmpk_gt_u32 s55, 0x87
	s_mov_b64 s[0:1], -1
	s_cbranch_scc0 .LBB0_254
; %bb.245:                              ;   in Loop: Header=BB0_84 Depth=1
	v_mov_b32_e32 v0, 0x89
	v_cmp_lt_i16_sdwa s[2:3], s55, v0 src0_sel:BYTE_0 src1_sel:DWORD
	s_and_b64 vcc, exec, s[2:3]
	s_cbranch_vccnz .LBB0_251
; %bb.246:                              ;   in Loop: Header=BB0_84 Depth=1
	v_cmp_ne_u16_sdwa s[2:3], s55, v0 src0_sel:BYTE_0 src1_sel:DWORD
	s_and_b64 vcc, exec, s[2:3]
	s_cbranch_vccz .LBB0_248
; %bb.247:                              ;   in Loop: Header=BB0_84 Depth=1
	s_add_u32 s8, s36, 0x1000
	s_addc_u32 s9, s37, 0
	s_mov_b64 s[4:5], s[38:39]
	s_mov_b64 s[10:11], s[34:35]
	s_mov_b32 s12, s45
	s_mov_b32 s13, s44
	s_mov_b32 s14, s33
	v_mov_b32_e32 v31, v40
	s_getpc_b64 s[0:1]
	s_add_u32 s0, s0, _Z50ncclDevFunc_AllReduce_RING_SIMPLE_MinMax_f16_1_0_1v@rel32@lo+4
	s_addc_u32 s1, s1, _Z50ncclDevFunc_AllReduce_RING_SIMPLE_MinMax_f16_1_0_1v@rel32@hi+12
	s_swappc_b64 s[30:31], s[0:1]
	s_mov_b64 s[0:1], 0
.LBB0_248:                              ;   in Loop: Header=BB0_84 Depth=1
	s_andn2_b64 vcc, exec, s[0:1]
	s_cbranch_vccnz .LBB0_250
; %bb.249:                              ;   in Loop: Header=BB0_84 Depth=1
	s_add_u32 s8, s36, 0x1000
	s_addc_u32 s9, s37, 0
	s_mov_b64 s[4:5], s[38:39]
	s_mov_b64 s[10:11], s[34:35]
	s_mov_b32 s12, s45
	s_mov_b32 s13, s44
	;; [unrolled: 1-line block ×3, first 2 shown]
	v_mov_b32_e32 v31, v40
	s_getpc_b64 s[0:1]
	s_add_u32 s0, s0, _Z50ncclDevFunc_AllReduce_RING_SIMPLE_MinMax_f16_0_0_1v@rel32@lo+4
	s_addc_u32 s1, s1, _Z50ncclDevFunc_AllReduce_RING_SIMPLE_MinMax_f16_0_0_1v@rel32@hi+12
	s_swappc_b64 s[30:31], s[0:1]
.LBB0_250:                              ;   in Loop: Header=BB0_84 Depth=1
	s_mov_b64 s[0:1], 0
.LBB0_251:                              ;   in Loop: Header=BB0_84 Depth=1
	s_andn2_b64 vcc, exec, s[0:1]
	s_cbranch_vccnz .LBB0_253
; %bb.252:                              ;   in Loop: Header=BB0_84 Depth=1
	s_add_u32 s8, s36, 0x1000
	s_addc_u32 s9, s37, 0
	s_mov_b64 s[4:5], s[38:39]
	s_mov_b64 s[10:11], s[34:35]
	s_mov_b32 s12, s45
	s_mov_b32 s13, s44
	;; [unrolled: 1-line block ×3, first 2 shown]
	v_mov_b32_e32 v31, v40
	s_getpc_b64 s[0:1]
	s_add_u32 s0, s0, _Z50ncclDevFunc_AllReduce_RING_SIMPLE_MinMax_u64_1_0_1v@rel32@lo+4
	s_addc_u32 s1, s1, _Z50ncclDevFunc_AllReduce_RING_SIMPLE_MinMax_u64_1_0_1v@rel32@hi+12
	s_swappc_b64 s[30:31], s[0:1]
.LBB0_253:                              ;   in Loop: Header=BB0_84 Depth=1
	s_mov_b64 s[0:1], 0
.LBB0_254:                              ;   in Loop: Header=BB0_84 Depth=1
	s_and_b64 vcc, exec, s[0:1]
	s_cbranch_vccz .LBB0_259
; %bb.255:                              ;   in Loop: Header=BB0_84 Depth=1
	s_cmpk_eq_i32 s55, 0x87
	s_mov_b64 s[0:1], -1
	s_cbranch_scc1 .LBB0_257
; %bb.256:                              ;   in Loop: Header=BB0_84 Depth=1
	s_add_u32 s8, s36, 0x1000
	s_addc_u32 s9, s37, 0
	s_mov_b64 s[4:5], s[38:39]
	s_mov_b64 s[10:11], s[34:35]
	s_mov_b32 s12, s45
	s_mov_b32 s13, s44
	;; [unrolled: 1-line block ×3, first 2 shown]
	v_mov_b32_e32 v31, v40
	s_getpc_b64 s[0:1]
	s_add_u32 s0, s0, _Z50ncclDevFunc_AllReduce_RING_SIMPLE_MinMax_u32_1_0_1v@rel32@lo+4
	s_addc_u32 s1, s1, _Z50ncclDevFunc_AllReduce_RING_SIMPLE_MinMax_u32_1_0_1v@rel32@hi+12
	s_swappc_b64 s[30:31], s[0:1]
	s_mov_b64 s[0:1], 0
.LBB0_257:                              ;   in Loop: Header=BB0_84 Depth=1
	s_andn2_b64 vcc, exec, s[0:1]
	s_cbranch_vccnz .LBB0_259
; %bb.258:                              ;   in Loop: Header=BB0_84 Depth=1
	s_add_u32 s8, s36, 0x1000
	s_addc_u32 s9, s37, 0
	s_mov_b64 s[4:5], s[38:39]
	s_mov_b64 s[10:11], s[34:35]
	s_mov_b32 s12, s45
	s_mov_b32 s13, s44
	;; [unrolled: 1-line block ×3, first 2 shown]
	v_mov_b32_e32 v31, v40
	s_getpc_b64 s[0:1]
	s_add_u32 s0, s0, _Z50ncclDevFunc_AllReduce_RING_SIMPLE_MinMax_u64_0_0_1v@rel32@lo+4
	s_addc_u32 s1, s1, _Z50ncclDevFunc_AllReduce_RING_SIMPLE_MinMax_u64_0_0_1v@rel32@hi+12
	s_swappc_b64 s[30:31], s[0:1]
.LBB0_259:                              ;   in Loop: Header=BB0_84 Depth=1
	s_mov_b64 s[0:1], 0
.LBB0_260:                              ;   in Loop: Header=BB0_84 Depth=1
	s_andn2_b64 vcc, exec, s[0:1]
	s_cbranch_vccnz .LBB0_422
; %bb.261:                              ;   in Loop: Header=BB0_84 Depth=1
	s_cmpk_gt_u32 s55, 0x6e
	s_mov_b64 s[0:1], -1
	s_cbranch_scc0 .LBB0_344
; %bb.262:                              ;   in Loop: Header=BB0_84 Depth=1
	s_cmpk_gt_u32 s55, 0x79
	s_cbranch_scc0 .LBB0_305
; %bb.263:                              ;   in Loop: Header=BB0_84 Depth=1
	s_cmpk_gt_u32 s55, 0x7f
	;; [unrolled: 3-line block ×3, first 2 shown]
	s_cbranch_scc0 .LBB0_274
; %bb.265:                              ;   in Loop: Header=BB0_84 Depth=1
	v_mov_b32_e32 v0, 0x84
	v_cmp_lt_i16_sdwa s[2:3], s55, v0 src0_sel:BYTE_0 src1_sel:DWORD
	s_and_b64 vcc, exec, s[2:3]
	s_cbranch_vccnz .LBB0_271
; %bb.266:                              ;   in Loop: Header=BB0_84 Depth=1
	v_cmp_ne_u16_sdwa s[2:3], s55, v0 src0_sel:BYTE_0 src1_sel:DWORD
	s_and_b64 vcc, exec, s[2:3]
	s_cbranch_vccz .LBB0_268
; %bb.267:                              ;   in Loop: Header=BB0_84 Depth=1
	s_add_u32 s8, s36, 0x1000
	s_addc_u32 s9, s37, 0
	s_mov_b64 s[4:5], s[38:39]
	s_mov_b64 s[10:11], s[34:35]
	s_mov_b32 s12, s45
	s_mov_b32 s13, s44
	;; [unrolled: 1-line block ×3, first 2 shown]
	v_mov_b32_e32 v31, v40
	s_getpc_b64 s[0:1]
	s_add_u32 s0, s0, _Z50ncclDevFunc_AllReduce_RING_SIMPLE_MinMax_u32_0_0_1v@rel32@lo+4
	s_addc_u32 s1, s1, _Z50ncclDevFunc_AllReduce_RING_SIMPLE_MinMax_u32_0_0_1v@rel32@hi+12
	s_swappc_b64 s[30:31], s[0:1]
	s_mov_b64 s[0:1], 0
.LBB0_268:                              ;   in Loop: Header=BB0_84 Depth=1
	s_andn2_b64 vcc, exec, s[0:1]
	s_cbranch_vccnz .LBB0_270
; %bb.269:                              ;   in Loop: Header=BB0_84 Depth=1
	s_add_u32 s8, s36, 0x1000
	s_addc_u32 s9, s37, 0
	s_mov_b64 s[4:5], s[38:39]
	s_mov_b64 s[10:11], s[34:35]
	s_mov_b32 s12, s45
	s_mov_b32 s13, s44
	s_mov_b32 s14, s33
	v_mov_b32_e32 v31, v40
	s_getpc_b64 s[0:1]
	s_add_u32 s0, s0, _Z49ncclDevFunc_AllReduce_RING_SIMPLE_MinMax_u8_1_0_1v@rel32@lo+4
	s_addc_u32 s1, s1, _Z49ncclDevFunc_AllReduce_RING_SIMPLE_MinMax_u8_1_0_1v@rel32@hi+12
	s_swappc_b64 s[30:31], s[0:1]
.LBB0_270:                              ;   in Loop: Header=BB0_84 Depth=1
	s_mov_b64 s[0:1], 0
.LBB0_271:                              ;   in Loop: Header=BB0_84 Depth=1
	s_andn2_b64 vcc, exec, s[0:1]
	s_cbranch_vccnz .LBB0_273
; %bb.272:                              ;   in Loop: Header=BB0_84 Depth=1
	s_add_u32 s8, s36, 0x1000
	s_addc_u32 s9, s37, 0
	s_mov_b64 s[4:5], s[38:39]
	s_mov_b64 s[10:11], s[34:35]
	s_mov_b32 s12, s45
	s_mov_b32 s13, s44
	;; [unrolled: 1-line block ×3, first 2 shown]
	v_mov_b32_e32 v31, v40
	s_getpc_b64 s[0:1]
	s_add_u32 s0, s0, _Z49ncclDevFunc_AllReduce_RING_SIMPLE_MinMax_u8_0_0_1v@rel32@lo+4
	s_addc_u32 s1, s1, _Z49ncclDevFunc_AllReduce_RING_SIMPLE_MinMax_u8_0_0_1v@rel32@hi+12
	s_swappc_b64 s[30:31], s[0:1]
.LBB0_273:                              ;   in Loop: Header=BB0_84 Depth=1
	s_mov_b64 s[0:1], 0
.LBB0_274:                              ;   in Loop: Header=BB0_84 Depth=1
	s_and_b64 vcc, exec, s[0:1]
	s_cbranch_vccz .LBB0_283
; %bb.275:                              ;   in Loop: Header=BB0_84 Depth=1
	v_mov_b32_e32 v0, 0x81
	v_cmp_lt_i16_sdwa s[2:3], s55, v0 src0_sel:BYTE_0 src1_sel:DWORD
	s_mov_b64 s[0:1], -1
	s_and_b64 vcc, exec, s[2:3]
	s_cbranch_vccnz .LBB0_281
; %bb.276:                              ;   in Loop: Header=BB0_84 Depth=1
	v_cmp_ne_u16_sdwa s[2:3], s55, v0 src0_sel:BYTE_0 src1_sel:DWORD
	s_and_b64 vcc, exec, s[2:3]
	s_cbranch_vccz .LBB0_278
; %bb.277:                              ;   in Loop: Header=BB0_84 Depth=1
	s_add_u32 s8, s36, 0x1000
	s_addc_u32 s9, s37, 0
	s_mov_b64 s[4:5], s[38:39]
	s_mov_b64 s[10:11], s[34:35]
	s_mov_b32 s12, s45
	s_mov_b32 s13, s44
	;; [unrolled: 1-line block ×3, first 2 shown]
	v_mov_b32_e32 v31, v40
	s_getpc_b64 s[0:1]
	s_add_u32 s0, s0, _Z51ncclDevFunc_AllReduce_RING_SIMPLE_Prod_f8e5m2_1_0_1v@rel32@lo+4
	s_addc_u32 s1, s1, _Z51ncclDevFunc_AllReduce_RING_SIMPLE_Prod_f8e5m2_1_0_1v@rel32@hi+12
	s_swappc_b64 s[30:31], s[0:1]
	s_mov_b64 s[0:1], 0
.LBB0_278:                              ;   in Loop: Header=BB0_84 Depth=1
	s_andn2_b64 vcc, exec, s[0:1]
	s_cbranch_vccnz .LBB0_280
; %bb.279:                              ;   in Loop: Header=BB0_84 Depth=1
	s_add_u32 s8, s36, 0x1000
	s_addc_u32 s9, s37, 0
	s_mov_b64 s[4:5], s[38:39]
	s_mov_b64 s[10:11], s[34:35]
	s_mov_b32 s12, s45
	s_mov_b32 s13, s44
	;; [unrolled: 1-line block ×3, first 2 shown]
	v_mov_b32_e32 v31, v40
	s_getpc_b64 s[0:1]
	s_add_u32 s0, s0, _Z51ncclDevFunc_AllReduce_RING_SIMPLE_Prod_f8e5m2_0_0_1v@rel32@lo+4
	s_addc_u32 s1, s1, _Z51ncclDevFunc_AllReduce_RING_SIMPLE_Prod_f8e5m2_0_0_1v@rel32@hi+12
	s_swappc_b64 s[30:31], s[0:1]
.LBB0_280:                              ;   in Loop: Header=BB0_84 Depth=1
	s_mov_b64 s[0:1], 0
.LBB0_281:                              ;   in Loop: Header=BB0_84 Depth=1
	s_andn2_b64 vcc, exec, s[0:1]
	s_cbranch_vccnz .LBB0_283
; %bb.282:                              ;   in Loop: Header=BB0_84 Depth=1
	s_add_u32 s8, s36, 0x1000
	s_addc_u32 s9, s37, 0
	s_mov_b64 s[4:5], s[38:39]
	s_mov_b64 s[10:11], s[34:35]
	s_mov_b32 s12, s45
	s_mov_b32 s13, s44
	;; [unrolled: 1-line block ×3, first 2 shown]
	v_mov_b32_e32 v31, v40
	s_getpc_b64 s[0:1]
	s_add_u32 s0, s0, _Z51ncclDevFunc_AllReduce_RING_SIMPLE_Prod_f8e4m3_1_0_1v@rel32@lo+4
	s_addc_u32 s1, s1, _Z51ncclDevFunc_AllReduce_RING_SIMPLE_Prod_f8e4m3_1_0_1v@rel32@hi+12
	s_swappc_b64 s[30:31], s[0:1]
.LBB0_283:                              ;   in Loop: Header=BB0_84 Depth=1
	s_mov_b64 s[0:1], 0
.LBB0_284:                              ;   in Loop: Header=BB0_84 Depth=1
	s_andn2_b64 vcc, exec, s[0:1]
	s_cbranch_vccnz .LBB0_304
; %bb.285:                              ;   in Loop: Header=BB0_84 Depth=1
	s_cmpk_gt_u32 s55, 0x7c
	s_mov_b64 s[0:1], -1
	s_cbranch_scc0 .LBB0_295
; %bb.286:                              ;   in Loop: Header=BB0_84 Depth=1
	v_cmp_lt_i16_e32 vcc, s55, v60
	s_cbranch_vccnz .LBB0_292
; %bb.287:                              ;   in Loop: Header=BB0_84 Depth=1
	v_cmp_ne_u16_e32 vcc, s55, v60
	s_cbranch_vccz .LBB0_289
; %bb.288:                              ;   in Loop: Header=BB0_84 Depth=1
	s_add_u32 s8, s36, 0x1000
	s_addc_u32 s9, s37, 0
	s_mov_b64 s[4:5], s[38:39]
	s_mov_b64 s[10:11], s[34:35]
	s_mov_b32 s12, s45
	s_mov_b32 s13, s44
	;; [unrolled: 1-line block ×3, first 2 shown]
	v_mov_b32_e32 v31, v40
	s_getpc_b64 s[0:1]
	s_add_u32 s0, s0, _Z51ncclDevFunc_AllReduce_RING_SIMPLE_Prod_f8e4m3_0_0_1v@rel32@lo+4
	s_addc_u32 s1, s1, _Z51ncclDevFunc_AllReduce_RING_SIMPLE_Prod_f8e4m3_0_0_1v@rel32@hi+12
	s_swappc_b64 s[30:31], s[0:1]
	s_mov_b64 s[0:1], 0
.LBB0_289:                              ;   in Loop: Header=BB0_84 Depth=1
	s_andn2_b64 vcc, exec, s[0:1]
	s_cbranch_vccnz .LBB0_291
; %bb.290:                              ;   in Loop: Header=BB0_84 Depth=1
	s_add_u32 s8, s36, 0x1000
	s_addc_u32 s9, s37, 0
	s_mov_b64 s[4:5], s[38:39]
	s_mov_b64 s[10:11], s[34:35]
	s_mov_b32 s12, s45
	s_mov_b32 s13, s44
	;; [unrolled: 1-line block ×3, first 2 shown]
	v_mov_b32_e32 v31, v40
	s_getpc_b64 s[0:1]
	s_add_u32 s0, s0, _Z49ncclDevFunc_AllReduce_RING_SIMPLE_Prod_bf16_1_1_1v@rel32@lo+4
	s_addc_u32 s1, s1, _Z49ncclDevFunc_AllReduce_RING_SIMPLE_Prod_bf16_1_1_1v@rel32@hi+12
	s_swappc_b64 s[30:31], s[0:1]
.LBB0_291:                              ;   in Loop: Header=BB0_84 Depth=1
	s_mov_b64 s[0:1], 0
.LBB0_292:                              ;   in Loop: Header=BB0_84 Depth=1
	s_andn2_b64 vcc, exec, s[0:1]
	s_cbranch_vccnz .LBB0_294
; %bb.293:                              ;   in Loop: Header=BB0_84 Depth=1
	s_add_u32 s8, s36, 0x1000
	s_addc_u32 s9, s37, 0
	s_mov_b64 s[4:5], s[38:39]
	s_mov_b64 s[10:11], s[34:35]
	s_mov_b32 s12, s45
	s_mov_b32 s13, s44
	;; [unrolled: 1-line block ×3, first 2 shown]
	v_mov_b32_e32 v31, v40
	s_getpc_b64 s[0:1]
	s_add_u32 s0, s0, _Z49ncclDevFunc_AllReduce_RING_SIMPLE_Prod_bf16_1_0_1v@rel32@lo+4
	s_addc_u32 s1, s1, _Z49ncclDevFunc_AllReduce_RING_SIMPLE_Prod_bf16_1_0_1v@rel32@hi+12
	s_swappc_b64 s[30:31], s[0:1]
.LBB0_294:                              ;   in Loop: Header=BB0_84 Depth=1
	s_mov_b64 s[0:1], 0
.LBB0_295:                              ;   in Loop: Header=BB0_84 Depth=1
	s_and_b64 vcc, exec, s[0:1]
	s_cbranch_vccz .LBB0_304
; %bb.296:                              ;   in Loop: Header=BB0_84 Depth=1
	v_cmp_lt_i16_e32 vcc, s55, v61
	s_mov_b64 s[0:1], -1
	s_cbranch_vccnz .LBB0_302
; %bb.297:                              ;   in Loop: Header=BB0_84 Depth=1
	v_cmp_ne_u16_e32 vcc, s55, v61
	s_cbranch_vccz .LBB0_299
; %bb.298:                              ;   in Loop: Header=BB0_84 Depth=1
	s_add_u32 s8, s36, 0x1000
	s_addc_u32 s9, s37, 0
	s_mov_b64 s[4:5], s[38:39]
	s_mov_b64 s[10:11], s[34:35]
	s_mov_b32 s12, s45
	s_mov_b32 s13, s44
	;; [unrolled: 1-line block ×3, first 2 shown]
	v_mov_b32_e32 v31, v40
	s_getpc_b64 s[0:1]
	s_add_u32 s0, s0, _Z49ncclDevFunc_AllReduce_RING_SIMPLE_Prod_bf16_0_1_1v@rel32@lo+4
	s_addc_u32 s1, s1, _Z49ncclDevFunc_AllReduce_RING_SIMPLE_Prod_bf16_0_1_1v@rel32@hi+12
	s_swappc_b64 s[30:31], s[0:1]
	s_mov_b64 s[0:1], 0
.LBB0_299:                              ;   in Loop: Header=BB0_84 Depth=1
	s_andn2_b64 vcc, exec, s[0:1]
	s_cbranch_vccnz .LBB0_301
; %bb.300:                              ;   in Loop: Header=BB0_84 Depth=1
	s_add_u32 s8, s36, 0x1000
	s_addc_u32 s9, s37, 0
	s_mov_b64 s[4:5], s[38:39]
	s_mov_b64 s[10:11], s[34:35]
	s_mov_b32 s12, s45
	s_mov_b32 s13, s44
	;; [unrolled: 1-line block ×3, first 2 shown]
	v_mov_b32_e32 v31, v40
	s_getpc_b64 s[0:1]
	s_add_u32 s0, s0, _Z49ncclDevFunc_AllReduce_RING_SIMPLE_Prod_bf16_0_0_1v@rel32@lo+4
	s_addc_u32 s1, s1, _Z49ncclDevFunc_AllReduce_RING_SIMPLE_Prod_bf16_0_0_1v@rel32@hi+12
	s_swappc_b64 s[30:31], s[0:1]
.LBB0_301:                              ;   in Loop: Header=BB0_84 Depth=1
	s_mov_b64 s[0:1], 0
.LBB0_302:                              ;   in Loop: Header=BB0_84 Depth=1
	s_andn2_b64 vcc, exec, s[0:1]
	s_cbranch_vccnz .LBB0_304
; %bb.303:                              ;   in Loop: Header=BB0_84 Depth=1
	s_add_u32 s8, s36, 0x1000
	s_addc_u32 s9, s37, 0
	s_mov_b64 s[4:5], s[38:39]
	s_mov_b64 s[10:11], s[34:35]
	s_mov_b32 s12, s45
	s_mov_b32 s13, s44
	;; [unrolled: 1-line block ×3, first 2 shown]
	v_mov_b32_e32 v31, v40
	s_getpc_b64 s[0:1]
	s_add_u32 s0, s0, _Z48ncclDevFunc_AllReduce_RING_SIMPLE_Prod_f64_1_0_1v@rel32@lo+4
	s_addc_u32 s1, s1, _Z48ncclDevFunc_AllReduce_RING_SIMPLE_Prod_f64_1_0_1v@rel32@hi+12
	s_swappc_b64 s[30:31], s[0:1]
.LBB0_304:                              ;   in Loop: Header=BB0_84 Depth=1
	s_mov_b64 s[0:1], 0
.LBB0_305:                              ;   in Loop: Header=BB0_84 Depth=1
	s_andn2_b64 vcc, exec, s[0:1]
	s_cbranch_vccnz .LBB0_343
; %bb.306:                              ;   in Loop: Header=BB0_84 Depth=1
	s_cmpk_gt_u32 s55, 0x73
	s_mov_b64 s[0:1], -1
	s_cbranch_scc0 .LBB0_327
; %bb.307:                              ;   in Loop: Header=BB0_84 Depth=1
	s_cmpk_gt_u32 s55, 0x76
	s_cbranch_scc0 .LBB0_317
; %bb.308:                              ;   in Loop: Header=BB0_84 Depth=1
	v_cmp_lt_i16_e32 vcc, s55, v62
	s_cbranch_vccnz .LBB0_314
; %bb.309:                              ;   in Loop: Header=BB0_84 Depth=1
	v_cmp_ne_u16_e32 vcc, s55, v62
	s_cbranch_vccz .LBB0_311
; %bb.310:                              ;   in Loop: Header=BB0_84 Depth=1
	s_add_u32 s8, s36, 0x1000
	s_addc_u32 s9, s37, 0
	s_mov_b64 s[4:5], s[38:39]
	s_mov_b64 s[10:11], s[34:35]
	s_mov_b32 s12, s45
	s_mov_b32 s13, s44
	;; [unrolled: 1-line block ×3, first 2 shown]
	v_mov_b32_e32 v31, v40
	s_getpc_b64 s[0:1]
	s_add_u32 s0, s0, _Z48ncclDevFunc_AllReduce_RING_SIMPLE_Prod_f64_0_0_1v@rel32@lo+4
	s_addc_u32 s1, s1, _Z48ncclDevFunc_AllReduce_RING_SIMPLE_Prod_f64_0_0_1v@rel32@hi+12
	s_swappc_b64 s[30:31], s[0:1]
	s_mov_b64 s[0:1], 0
.LBB0_311:                              ;   in Loop: Header=BB0_84 Depth=1
	s_andn2_b64 vcc, exec, s[0:1]
	s_cbranch_vccnz .LBB0_313
; %bb.312:                              ;   in Loop: Header=BB0_84 Depth=1
	s_add_u32 s8, s36, 0x1000
	s_addc_u32 s9, s37, 0
	s_mov_b64 s[4:5], s[38:39]
	s_mov_b64 s[10:11], s[34:35]
	s_mov_b32 s12, s45
	s_mov_b32 s13, s44
	;; [unrolled: 1-line block ×3, first 2 shown]
	v_mov_b32_e32 v31, v40
	s_getpc_b64 s[0:1]
	s_add_u32 s0, s0, _Z48ncclDevFunc_AllReduce_RING_SIMPLE_Prod_f32_1_0_1v@rel32@lo+4
	s_addc_u32 s1, s1, _Z48ncclDevFunc_AllReduce_RING_SIMPLE_Prod_f32_1_0_1v@rel32@hi+12
	s_swappc_b64 s[30:31], s[0:1]
.LBB0_313:                              ;   in Loop: Header=BB0_84 Depth=1
	s_mov_b64 s[0:1], 0
.LBB0_314:                              ;   in Loop: Header=BB0_84 Depth=1
	s_andn2_b64 vcc, exec, s[0:1]
	s_cbranch_vccnz .LBB0_316
; %bb.315:                              ;   in Loop: Header=BB0_84 Depth=1
	s_add_u32 s8, s36, 0x1000
	s_addc_u32 s9, s37, 0
	s_mov_b64 s[4:5], s[38:39]
	s_mov_b64 s[10:11], s[34:35]
	s_mov_b32 s12, s45
	s_mov_b32 s13, s44
	;; [unrolled: 1-line block ×3, first 2 shown]
	v_mov_b32_e32 v31, v40
	s_getpc_b64 s[0:1]
	s_add_u32 s0, s0, _Z48ncclDevFunc_AllReduce_RING_SIMPLE_Prod_f32_0_0_1v@rel32@lo+4
	s_addc_u32 s1, s1, _Z48ncclDevFunc_AllReduce_RING_SIMPLE_Prod_f32_0_0_1v@rel32@hi+12
	s_swappc_b64 s[30:31], s[0:1]
.LBB0_316:                              ;   in Loop: Header=BB0_84 Depth=1
	s_mov_b64 s[0:1], 0
.LBB0_317:                              ;   in Loop: Header=BB0_84 Depth=1
	s_and_b64 vcc, exec, s[0:1]
	s_cbranch_vccz .LBB0_326
; %bb.318:                              ;   in Loop: Header=BB0_84 Depth=1
	v_cmp_lt_i16_e32 vcc, s55, v63
	s_mov_b64 s[0:1], -1
	s_cbranch_vccnz .LBB0_324
; %bb.319:                              ;   in Loop: Header=BB0_84 Depth=1
	v_cmp_ne_u16_e32 vcc, s55, v63
	s_cbranch_vccz .LBB0_321
; %bb.320:                              ;   in Loop: Header=BB0_84 Depth=1
	s_add_u32 s8, s36, 0x1000
	s_addc_u32 s9, s37, 0
	s_mov_b64 s[4:5], s[38:39]
	s_mov_b64 s[10:11], s[34:35]
	s_mov_b32 s12, s45
	s_mov_b32 s13, s44
	;; [unrolled: 1-line block ×3, first 2 shown]
	v_mov_b32_e32 v31, v40
	s_getpc_b64 s[0:1]
	s_add_u32 s0, s0, _Z48ncclDevFunc_AllReduce_RING_SIMPLE_Prod_f16_1_0_1v@rel32@lo+4
	s_addc_u32 s1, s1, _Z48ncclDevFunc_AllReduce_RING_SIMPLE_Prod_f16_1_0_1v@rel32@hi+12
	s_swappc_b64 s[30:31], s[0:1]
	s_mov_b64 s[0:1], 0
.LBB0_321:                              ;   in Loop: Header=BB0_84 Depth=1
	s_andn2_b64 vcc, exec, s[0:1]
	s_cbranch_vccnz .LBB0_323
; %bb.322:                              ;   in Loop: Header=BB0_84 Depth=1
	s_add_u32 s8, s36, 0x1000
	s_addc_u32 s9, s37, 0
	s_mov_b64 s[4:5], s[38:39]
	s_mov_b64 s[10:11], s[34:35]
	s_mov_b32 s12, s45
	s_mov_b32 s13, s44
	;; [unrolled: 1-line block ×3, first 2 shown]
	v_mov_b32_e32 v31, v40
	s_getpc_b64 s[0:1]
	s_add_u32 s0, s0, _Z48ncclDevFunc_AllReduce_RING_SIMPLE_Prod_f16_0_0_1v@rel32@lo+4
	s_addc_u32 s1, s1, _Z48ncclDevFunc_AllReduce_RING_SIMPLE_Prod_f16_0_0_1v@rel32@hi+12
	s_swappc_b64 s[30:31], s[0:1]
.LBB0_323:                              ;   in Loop: Header=BB0_84 Depth=1
	s_mov_b64 s[0:1], 0
.LBB0_324:                              ;   in Loop: Header=BB0_84 Depth=1
	s_andn2_b64 vcc, exec, s[0:1]
	s_cbranch_vccnz .LBB0_326
; %bb.325:                              ;   in Loop: Header=BB0_84 Depth=1
	s_add_u32 s8, s36, 0x1000
	s_addc_u32 s9, s37, 0
	s_mov_b64 s[4:5], s[38:39]
	s_mov_b64 s[10:11], s[34:35]
	s_mov_b32 s12, s45
	s_mov_b32 s13, s44
	;; [unrolled: 1-line block ×3, first 2 shown]
	v_mov_b32_e32 v31, v40
	s_getpc_b64 s[0:1]
	s_add_u32 s0, s0, _Z48ncclDevFunc_AllReduce_RING_SIMPLE_Prod_u64_1_0_1v@rel32@lo+4
	s_addc_u32 s1, s1, _Z48ncclDevFunc_AllReduce_RING_SIMPLE_Prod_u64_1_0_1v@rel32@hi+12
	s_swappc_b64 s[30:31], s[0:1]
.LBB0_326:                              ;   in Loop: Header=BB0_84 Depth=1
	s_mov_b64 s[0:1], 0
.LBB0_327:                              ;   in Loop: Header=BB0_84 Depth=1
	s_andn2_b64 vcc, exec, s[0:1]
	s_cbranch_vccnz .LBB0_343
; %bb.328:                              ;   in Loop: Header=BB0_84 Depth=1
	s_cmpk_gt_u32 s55, 0x70
	s_mov_b64 s[0:1], -1
	s_cbranch_scc0 .LBB0_338
; %bb.329:                              ;   in Loop: Header=BB0_84 Depth=1
	v_cmp_lt_i16_e32 vcc, s55, v72
	s_cbranch_vccnz .LBB0_335
; %bb.330:                              ;   in Loop: Header=BB0_84 Depth=1
	v_cmp_ne_u16_e32 vcc, s55, v72
	s_cbranch_vccz .LBB0_332
; %bb.331:                              ;   in Loop: Header=BB0_84 Depth=1
	s_add_u32 s8, s36, 0x1000
	s_addc_u32 s9, s37, 0
	s_mov_b64 s[4:5], s[38:39]
	s_mov_b64 s[10:11], s[34:35]
	s_mov_b32 s12, s45
	s_mov_b32 s13, s44
	;; [unrolled: 1-line block ×3, first 2 shown]
	v_mov_b32_e32 v31, v40
	s_getpc_b64 s[0:1]
	s_add_u32 s0, s0, _Z48ncclDevFunc_AllReduce_RING_SIMPLE_Prod_u64_0_0_1v@rel32@lo+4
	s_addc_u32 s1, s1, _Z48ncclDevFunc_AllReduce_RING_SIMPLE_Prod_u64_0_0_1v@rel32@hi+12
	s_swappc_b64 s[30:31], s[0:1]
	s_mov_b64 s[0:1], 0
.LBB0_332:                              ;   in Loop: Header=BB0_84 Depth=1
	s_andn2_b64 vcc, exec, s[0:1]
	s_cbranch_vccnz .LBB0_334
; %bb.333:                              ;   in Loop: Header=BB0_84 Depth=1
	s_add_u32 s8, s36, 0x1000
	s_addc_u32 s9, s37, 0
	s_mov_b64 s[4:5], s[38:39]
	s_mov_b64 s[10:11], s[34:35]
	s_mov_b32 s12, s45
	s_mov_b32 s13, s44
	;; [unrolled: 1-line block ×3, first 2 shown]
	v_mov_b32_e32 v31, v40
	s_getpc_b64 s[0:1]
	s_add_u32 s0, s0, _Z48ncclDevFunc_AllReduce_RING_SIMPLE_Prod_u32_1_0_1v@rel32@lo+4
	s_addc_u32 s1, s1, _Z48ncclDevFunc_AllReduce_RING_SIMPLE_Prod_u32_1_0_1v@rel32@hi+12
	s_swappc_b64 s[30:31], s[0:1]
.LBB0_334:                              ;   in Loop: Header=BB0_84 Depth=1
	s_mov_b64 s[0:1], 0
.LBB0_335:                              ;   in Loop: Header=BB0_84 Depth=1
	s_andn2_b64 vcc, exec, s[0:1]
	s_cbranch_vccnz .LBB0_337
; %bb.336:                              ;   in Loop: Header=BB0_84 Depth=1
	s_add_u32 s8, s36, 0x1000
	s_addc_u32 s9, s37, 0
	s_mov_b64 s[4:5], s[38:39]
	s_mov_b64 s[10:11], s[34:35]
	s_mov_b32 s12, s45
	s_mov_b32 s13, s44
	;; [unrolled: 1-line block ×3, first 2 shown]
	v_mov_b32_e32 v31, v40
	s_getpc_b64 s[0:1]
	s_add_u32 s0, s0, _Z48ncclDevFunc_AllReduce_RING_SIMPLE_Prod_u32_0_0_1v@rel32@lo+4
	s_addc_u32 s1, s1, _Z48ncclDevFunc_AllReduce_RING_SIMPLE_Prod_u32_0_0_1v@rel32@hi+12
	s_swappc_b64 s[30:31], s[0:1]
.LBB0_337:                              ;   in Loop: Header=BB0_84 Depth=1
	s_mov_b64 s[0:1], 0
.LBB0_338:                              ;   in Loop: Header=BB0_84 Depth=1
	s_and_b64 vcc, exec, s[0:1]
	s_cbranch_vccz .LBB0_343
; %bb.339:                              ;   in Loop: Header=BB0_84 Depth=1
	s_cmpk_eq_i32 s55, 0x70
	s_mov_b64 s[0:1], -1
	s_cbranch_scc1 .LBB0_341
; %bb.340:                              ;   in Loop: Header=BB0_84 Depth=1
	s_add_u32 s8, s36, 0x1000
	s_addc_u32 s9, s37, 0
	s_mov_b64 s[4:5], s[38:39]
	s_mov_b64 s[10:11], s[34:35]
	s_mov_b32 s12, s45
	s_mov_b32 s13, s44
	;; [unrolled: 1-line block ×3, first 2 shown]
	v_mov_b32_e32 v31, v40
	s_getpc_b64 s[0:1]
	s_add_u32 s0, s0, _Z47ncclDevFunc_AllReduce_RING_SIMPLE_Prod_u8_0_0_1v@rel32@lo+4
	s_addc_u32 s1, s1, _Z47ncclDevFunc_AllReduce_RING_SIMPLE_Prod_u8_0_0_1v@rel32@hi+12
	s_swappc_b64 s[30:31], s[0:1]
	s_mov_b64 s[0:1], 0
.LBB0_341:                              ;   in Loop: Header=BB0_84 Depth=1
	s_andn2_b64 vcc, exec, s[0:1]
	s_cbranch_vccnz .LBB0_343
; %bb.342:                              ;   in Loop: Header=BB0_84 Depth=1
	s_add_u32 s8, s36, 0x1000
	s_addc_u32 s9, s37, 0
	s_mov_b64 s[4:5], s[38:39]
	s_mov_b64 s[10:11], s[34:35]
	s_mov_b32 s12, s45
	s_mov_b32 s13, s44
	;; [unrolled: 1-line block ×3, first 2 shown]
	v_mov_b32_e32 v31, v40
	s_getpc_b64 s[0:1]
	s_add_u32 s0, s0, _Z47ncclDevFunc_AllReduce_RING_SIMPLE_Prod_u8_1_0_1v@rel32@lo+4
	s_addc_u32 s1, s1, _Z47ncclDevFunc_AllReduce_RING_SIMPLE_Prod_u8_1_0_1v@rel32@hi+12
	s_swappc_b64 s[30:31], s[0:1]
.LBB0_343:                              ;   in Loop: Header=BB0_84 Depth=1
	s_mov_b64 s[0:1], 0
.LBB0_344:                              ;   in Loop: Header=BB0_84 Depth=1
	s_andn2_b64 vcc, exec, s[0:1]
	s_cbranch_vccnz .LBB0_422
; %bb.345:                              ;   in Loop: Header=BB0_84 Depth=1
	s_cmpk_gt_u32 s55, 0x63
	s_mov_b64 s[0:1], -1
	s_cbranch_scc0 .LBB0_384
; %bb.346:                              ;   in Loop: Header=BB0_84 Depth=1
	s_cmpk_gt_u32 s55, 0x68
	s_cbranch_scc0 .LBB0_367
; %bb.347:                              ;   in Loop: Header=BB0_84 Depth=1
	s_cmpk_gt_u32 s55, 0x6b
	s_cbranch_scc0 .LBB0_357
; %bb.348:                              ;   in Loop: Header=BB0_84 Depth=1
	v_cmp_lt_i16_e32 vcc, s55, v73
	s_cbranch_vccnz .LBB0_354
; %bb.349:                              ;   in Loop: Header=BB0_84 Depth=1
	v_cmp_ne_u16_e32 vcc, s55, v73
	s_cbranch_vccz .LBB0_351
; %bb.350:                              ;   in Loop: Header=BB0_84 Depth=1
	s_add_u32 s8, s36, 0x1000
	s_addc_u32 s9, s37, 0
	s_mov_b64 s[4:5], s[38:39]
	s_mov_b64 s[10:11], s[34:35]
	s_mov_b32 s12, s45
	s_mov_b32 s13, s44
	;; [unrolled: 1-line block ×3, first 2 shown]
	v_mov_b32_e32 v31, v40
	s_getpc_b64 s[0:1]
	s_add_u32 s0, s0, _Z50ncclDevFunc_AllReduce_RING_SIMPLE_Sum_f8e5m2_1_0_1v@rel32@lo+4
	s_addc_u32 s1, s1, _Z50ncclDevFunc_AllReduce_RING_SIMPLE_Sum_f8e5m2_1_0_1v@rel32@hi+12
	s_swappc_b64 s[30:31], s[0:1]
	s_mov_b64 s[0:1], 0
.LBB0_351:                              ;   in Loop: Header=BB0_84 Depth=1
	s_andn2_b64 vcc, exec, s[0:1]
	s_cbranch_vccnz .LBB0_353
; %bb.352:                              ;   in Loop: Header=BB0_84 Depth=1
	s_add_u32 s8, s36, 0x1000
	s_addc_u32 s9, s37, 0
	s_mov_b64 s[4:5], s[38:39]
	s_mov_b64 s[10:11], s[34:35]
	s_mov_b32 s12, s45
	s_mov_b32 s13, s44
	;; [unrolled: 1-line block ×3, first 2 shown]
	v_mov_b32_e32 v31, v40
	s_getpc_b64 s[0:1]
	s_add_u32 s0, s0, _Z50ncclDevFunc_AllReduce_RING_SIMPLE_Sum_f8e5m2_0_0_1v@rel32@lo+4
	s_addc_u32 s1, s1, _Z50ncclDevFunc_AllReduce_RING_SIMPLE_Sum_f8e5m2_0_0_1v@rel32@hi+12
	s_swappc_b64 s[30:31], s[0:1]
.LBB0_353:                              ;   in Loop: Header=BB0_84 Depth=1
	s_mov_b64 s[0:1], 0
.LBB0_354:                              ;   in Loop: Header=BB0_84 Depth=1
	s_andn2_b64 vcc, exec, s[0:1]
	s_cbranch_vccnz .LBB0_356
; %bb.355:                              ;   in Loop: Header=BB0_84 Depth=1
	s_add_u32 s8, s36, 0x1000
	s_addc_u32 s9, s37, 0
	s_mov_b64 s[4:5], s[38:39]
	s_mov_b64 s[10:11], s[34:35]
	s_mov_b32 s12, s45
	s_mov_b32 s13, s44
	;; [unrolled: 1-line block ×3, first 2 shown]
	v_mov_b32_e32 v31, v40
	s_getpc_b64 s[0:1]
	s_add_u32 s0, s0, _Z50ncclDevFunc_AllReduce_RING_SIMPLE_Sum_f8e4m3_1_0_1v@rel32@lo+4
	s_addc_u32 s1, s1, _Z50ncclDevFunc_AllReduce_RING_SIMPLE_Sum_f8e4m3_1_0_1v@rel32@hi+12
	s_swappc_b64 s[30:31], s[0:1]
.LBB0_356:                              ;   in Loop: Header=BB0_84 Depth=1
	s_mov_b64 s[0:1], 0
.LBB0_357:                              ;   in Loop: Header=BB0_84 Depth=1
	s_and_b64 vcc, exec, s[0:1]
	s_cbranch_vccz .LBB0_366
; %bb.358:                              ;   in Loop: Header=BB0_84 Depth=1
	v_cmp_lt_i16_e32 vcc, s55, v74
	s_mov_b64 s[0:1], -1
	s_cbranch_vccnz .LBB0_364
; %bb.359:                              ;   in Loop: Header=BB0_84 Depth=1
	v_cmp_ne_u16_e32 vcc, s55, v74
	s_cbranch_vccz .LBB0_361
; %bb.360:                              ;   in Loop: Header=BB0_84 Depth=1
	s_add_u32 s8, s36, 0x1000
	s_addc_u32 s9, s37, 0
	s_mov_b64 s[4:5], s[38:39]
	s_mov_b64 s[10:11], s[34:35]
	s_mov_b32 s12, s45
	s_mov_b32 s13, s44
	;; [unrolled: 1-line block ×3, first 2 shown]
	v_mov_b32_e32 v31, v40
	s_getpc_b64 s[0:1]
	s_add_u32 s0, s0, _Z50ncclDevFunc_AllReduce_RING_SIMPLE_Sum_f8e4m3_0_0_1v@rel32@lo+4
	s_addc_u32 s1, s1, _Z50ncclDevFunc_AllReduce_RING_SIMPLE_Sum_f8e4m3_0_0_1v@rel32@hi+12
	s_swappc_b64 s[30:31], s[0:1]
	s_mov_b64 s[0:1], 0
.LBB0_361:                              ;   in Loop: Header=BB0_84 Depth=1
	s_andn2_b64 vcc, exec, s[0:1]
	s_cbranch_vccnz .LBB0_363
; %bb.362:                              ;   in Loop: Header=BB0_84 Depth=1
	s_add_u32 s8, s36, 0x1000
	s_addc_u32 s9, s37, 0
	s_mov_b64 s[4:5], s[38:39]
	s_mov_b64 s[10:11], s[34:35]
	s_mov_b32 s12, s45
	s_mov_b32 s13, s44
	;; [unrolled: 1-line block ×3, first 2 shown]
	v_mov_b32_e32 v31, v40
	s_getpc_b64 s[0:1]
	s_add_u32 s0, s0, _Z48ncclDevFunc_AllReduce_RING_SIMPLE_Sum_bf16_1_1_1v@rel32@lo+4
	s_addc_u32 s1, s1, _Z48ncclDevFunc_AllReduce_RING_SIMPLE_Sum_bf16_1_1_1v@rel32@hi+12
	s_swappc_b64 s[30:31], s[0:1]
.LBB0_363:                              ;   in Loop: Header=BB0_84 Depth=1
	s_mov_b64 s[0:1], 0
.LBB0_364:                              ;   in Loop: Header=BB0_84 Depth=1
	s_andn2_b64 vcc, exec, s[0:1]
	s_cbranch_vccnz .LBB0_366
; %bb.365:                              ;   in Loop: Header=BB0_84 Depth=1
	s_add_u32 s8, s36, 0x1000
	s_addc_u32 s9, s37, 0
	s_mov_b64 s[4:5], s[38:39]
	s_mov_b64 s[10:11], s[34:35]
	s_mov_b32 s12, s45
	s_mov_b32 s13, s44
	;; [unrolled: 1-line block ×3, first 2 shown]
	v_mov_b32_e32 v31, v40
	s_getpc_b64 s[0:1]
	s_add_u32 s0, s0, _Z48ncclDevFunc_AllReduce_RING_SIMPLE_Sum_bf16_1_0_1v@rel32@lo+4
	s_addc_u32 s1, s1, _Z48ncclDevFunc_AllReduce_RING_SIMPLE_Sum_bf16_1_0_1v@rel32@hi+12
	s_swappc_b64 s[30:31], s[0:1]
.LBB0_366:                              ;   in Loop: Header=BB0_84 Depth=1
	s_mov_b64 s[0:1], 0
.LBB0_367:                              ;   in Loop: Header=BB0_84 Depth=1
	s_andn2_b64 vcc, exec, s[0:1]
	s_cbranch_vccnz .LBB0_383
; %bb.368:                              ;   in Loop: Header=BB0_84 Depth=1
	s_cmpk_gt_u32 s55, 0x65
	s_mov_b64 s[0:1], -1
	s_cbranch_scc0 .LBB0_378
; %bb.369:                              ;   in Loop: Header=BB0_84 Depth=1
	v_cmp_lt_i16_e32 vcc, s55, v75
	s_cbranch_vccnz .LBB0_375
; %bb.370:                              ;   in Loop: Header=BB0_84 Depth=1
	v_cmp_ne_u16_e32 vcc, s55, v75
	s_cbranch_vccz .LBB0_372
; %bb.371:                              ;   in Loop: Header=BB0_84 Depth=1
	s_add_u32 s8, s36, 0x1000
	s_addc_u32 s9, s37, 0
	s_mov_b64 s[4:5], s[38:39]
	s_mov_b64 s[10:11], s[34:35]
	s_mov_b32 s12, s45
	s_mov_b32 s13, s44
	;; [unrolled: 1-line block ×3, first 2 shown]
	v_mov_b32_e32 v31, v40
	s_getpc_b64 s[0:1]
	s_add_u32 s0, s0, _Z48ncclDevFunc_AllReduce_RING_SIMPLE_Sum_bf16_0_1_1v@rel32@lo+4
	s_addc_u32 s1, s1, _Z48ncclDevFunc_AllReduce_RING_SIMPLE_Sum_bf16_0_1_1v@rel32@hi+12
	s_swappc_b64 s[30:31], s[0:1]
	s_mov_b64 s[0:1], 0
.LBB0_372:                              ;   in Loop: Header=BB0_84 Depth=1
	s_andn2_b64 vcc, exec, s[0:1]
	s_cbranch_vccnz .LBB0_374
; %bb.373:                              ;   in Loop: Header=BB0_84 Depth=1
	s_add_u32 s8, s36, 0x1000
	s_addc_u32 s9, s37, 0
	s_mov_b64 s[4:5], s[38:39]
	s_mov_b64 s[10:11], s[34:35]
	s_mov_b32 s12, s45
	s_mov_b32 s13, s44
	;; [unrolled: 1-line block ×3, first 2 shown]
	v_mov_b32_e32 v31, v40
	s_getpc_b64 s[0:1]
	s_add_u32 s0, s0, _Z48ncclDevFunc_AllReduce_RING_SIMPLE_Sum_bf16_0_0_1v@rel32@lo+4
	s_addc_u32 s1, s1, _Z48ncclDevFunc_AllReduce_RING_SIMPLE_Sum_bf16_0_0_1v@rel32@hi+12
	s_swappc_b64 s[30:31], s[0:1]
.LBB0_374:                              ;   in Loop: Header=BB0_84 Depth=1
	s_mov_b64 s[0:1], 0
.LBB0_375:                              ;   in Loop: Header=BB0_84 Depth=1
	s_andn2_b64 vcc, exec, s[0:1]
	s_cbranch_vccnz .LBB0_377
; %bb.376:                              ;   in Loop: Header=BB0_84 Depth=1
	s_add_u32 s8, s36, 0x1000
	s_addc_u32 s9, s37, 0
	s_mov_b64 s[4:5], s[38:39]
	s_mov_b64 s[10:11], s[34:35]
	s_mov_b32 s12, s45
	s_mov_b32 s13, s44
	;; [unrolled: 1-line block ×3, first 2 shown]
	v_mov_b32_e32 v31, v40
	s_getpc_b64 s[0:1]
	s_add_u32 s0, s0, _Z47ncclDevFunc_AllReduce_RING_SIMPLE_Sum_f64_1_0_1v@rel32@lo+4
	s_addc_u32 s1, s1, _Z47ncclDevFunc_AllReduce_RING_SIMPLE_Sum_f64_1_0_1v@rel32@hi+12
	s_swappc_b64 s[30:31], s[0:1]
.LBB0_377:                              ;   in Loop: Header=BB0_84 Depth=1
	s_mov_b64 s[0:1], 0
.LBB0_378:                              ;   in Loop: Header=BB0_84 Depth=1
	s_and_b64 vcc, exec, s[0:1]
	s_cbranch_vccz .LBB0_383
; %bb.379:                              ;   in Loop: Header=BB0_84 Depth=1
	s_cmpk_eq_i32 s55, 0x65
	s_mov_b64 s[0:1], -1
	s_cbranch_scc1 .LBB0_381
; %bb.380:                              ;   in Loop: Header=BB0_84 Depth=1
	s_add_u32 s8, s36, 0x1000
	s_addc_u32 s9, s37, 0
	s_mov_b64 s[4:5], s[38:39]
	s_mov_b64 s[10:11], s[34:35]
	s_mov_b32 s12, s45
	s_mov_b32 s13, s44
	;; [unrolled: 1-line block ×3, first 2 shown]
	v_mov_b32_e32 v31, v40
	s_getpc_b64 s[0:1]
	s_add_u32 s0, s0, _Z47ncclDevFunc_AllReduce_RING_SIMPLE_Sum_f32_1_0_1v@rel32@lo+4
	s_addc_u32 s1, s1, _Z47ncclDevFunc_AllReduce_RING_SIMPLE_Sum_f32_1_0_1v@rel32@hi+12
	s_swappc_b64 s[30:31], s[0:1]
	s_mov_b64 s[0:1], 0
.LBB0_381:                              ;   in Loop: Header=BB0_84 Depth=1
	s_andn2_b64 vcc, exec, s[0:1]
	s_cbranch_vccnz .LBB0_383
; %bb.382:                              ;   in Loop: Header=BB0_84 Depth=1
	s_add_u32 s8, s36, 0x1000
	s_addc_u32 s9, s37, 0
	s_mov_b64 s[4:5], s[38:39]
	s_mov_b64 s[10:11], s[34:35]
	s_mov_b32 s12, s45
	s_mov_b32 s13, s44
	;; [unrolled: 1-line block ×3, first 2 shown]
	v_mov_b32_e32 v31, v40
	s_getpc_b64 s[0:1]
	s_add_u32 s0, s0, _Z47ncclDevFunc_AllReduce_RING_SIMPLE_Sum_f64_0_0_1v@rel32@lo+4
	s_addc_u32 s1, s1, _Z47ncclDevFunc_AllReduce_RING_SIMPLE_Sum_f64_0_0_1v@rel32@hi+12
	s_swappc_b64 s[30:31], s[0:1]
.LBB0_383:                              ;   in Loop: Header=BB0_84 Depth=1
	s_mov_b64 s[0:1], 0
.LBB0_384:                              ;   in Loop: Header=BB0_84 Depth=1
	s_andn2_b64 vcc, exec, s[0:1]
	s_cbranch_vccnz .LBB0_422
; %bb.385:                              ;   in Loop: Header=BB0_84 Depth=1
	s_cmpk_gt_u32 s55, 0x5d
	s_mov_b64 s[0:1], -1
	s_cbranch_scc0 .LBB0_406
; %bb.386:                              ;   in Loop: Header=BB0_84 Depth=1
	s_cmpk_gt_u32 s55, 0x60
	s_cbranch_scc0 .LBB0_396
; %bb.387:                              ;   in Loop: Header=BB0_84 Depth=1
	v_cmp_lt_i16_e32 vcc, s55, v76
	s_cbranch_vccnz .LBB0_393
; %bb.388:                              ;   in Loop: Header=BB0_84 Depth=1
	v_cmp_ne_u16_e32 vcc, s55, v76
	s_cbranch_vccz .LBB0_390
; %bb.389:                              ;   in Loop: Header=BB0_84 Depth=1
	s_add_u32 s8, s36, 0x1000
	s_addc_u32 s9, s37, 0
	s_mov_b64 s[4:5], s[38:39]
	s_mov_b64 s[10:11], s[34:35]
	s_mov_b32 s12, s45
	s_mov_b32 s13, s44
	;; [unrolled: 1-line block ×3, first 2 shown]
	v_mov_b32_e32 v31, v40
	s_getpc_b64 s[0:1]
	s_add_u32 s0, s0, _Z47ncclDevFunc_AllReduce_RING_SIMPLE_Sum_f32_0_0_1v@rel32@lo+4
	s_addc_u32 s1, s1, _Z47ncclDevFunc_AllReduce_RING_SIMPLE_Sum_f32_0_0_1v@rel32@hi+12
	s_swappc_b64 s[30:31], s[0:1]
	s_mov_b64 s[0:1], 0
.LBB0_390:                              ;   in Loop: Header=BB0_84 Depth=1
	s_andn2_b64 vcc, exec, s[0:1]
	s_cbranch_vccnz .LBB0_392
; %bb.391:                              ;   in Loop: Header=BB0_84 Depth=1
	s_add_u32 s8, s36, 0x1000
	s_addc_u32 s9, s37, 0
	s_mov_b64 s[4:5], s[38:39]
	s_mov_b64 s[10:11], s[34:35]
	s_mov_b32 s12, s45
	s_mov_b32 s13, s44
	;; [unrolled: 1-line block ×3, first 2 shown]
	v_mov_b32_e32 v31, v40
	s_getpc_b64 s[0:1]
	s_add_u32 s0, s0, _Z47ncclDevFunc_AllReduce_RING_SIMPLE_Sum_f16_1_0_1v@rel32@lo+4
	s_addc_u32 s1, s1, _Z47ncclDevFunc_AllReduce_RING_SIMPLE_Sum_f16_1_0_1v@rel32@hi+12
	s_swappc_b64 s[30:31], s[0:1]
.LBB0_392:                              ;   in Loop: Header=BB0_84 Depth=1
	s_mov_b64 s[0:1], 0
.LBB0_393:                              ;   in Loop: Header=BB0_84 Depth=1
	s_andn2_b64 vcc, exec, s[0:1]
	s_cbranch_vccnz .LBB0_395
; %bb.394:                              ;   in Loop: Header=BB0_84 Depth=1
	s_add_u32 s8, s36, 0x1000
	s_addc_u32 s9, s37, 0
	s_mov_b64 s[4:5], s[38:39]
	s_mov_b64 s[10:11], s[34:35]
	s_mov_b32 s12, s45
	s_mov_b32 s13, s44
	;; [unrolled: 1-line block ×3, first 2 shown]
	v_mov_b32_e32 v31, v40
	s_getpc_b64 s[0:1]
	s_add_u32 s0, s0, _Z47ncclDevFunc_AllReduce_RING_SIMPLE_Sum_f16_0_0_1v@rel32@lo+4
	s_addc_u32 s1, s1, _Z47ncclDevFunc_AllReduce_RING_SIMPLE_Sum_f16_0_0_1v@rel32@hi+12
	s_swappc_b64 s[30:31], s[0:1]
.LBB0_395:                              ;   in Loop: Header=BB0_84 Depth=1
	s_mov_b64 s[0:1], 0
.LBB0_396:                              ;   in Loop: Header=BB0_84 Depth=1
	s_and_b64 vcc, exec, s[0:1]
	s_cbranch_vccz .LBB0_405
; %bb.397:                              ;   in Loop: Header=BB0_84 Depth=1
	v_cmp_lt_i16_e32 vcc, s55, v77
	s_mov_b64 s[0:1], -1
	s_cbranch_vccnz .LBB0_403
; %bb.398:                              ;   in Loop: Header=BB0_84 Depth=1
	v_cmp_ne_u16_e32 vcc, s55, v77
	s_cbranch_vccz .LBB0_400
; %bb.399:                              ;   in Loop: Header=BB0_84 Depth=1
	s_add_u32 s8, s36, 0x1000
	s_addc_u32 s9, s37, 0
	s_mov_b64 s[4:5], s[38:39]
	s_mov_b64 s[10:11], s[34:35]
	s_mov_b32 s12, s45
	s_mov_b32 s13, s44
	;; [unrolled: 1-line block ×3, first 2 shown]
	v_mov_b32_e32 v31, v40
	s_getpc_b64 s[0:1]
	s_add_u32 s0, s0, _Z47ncclDevFunc_AllReduce_RING_SIMPLE_Sum_u64_1_0_1v@rel32@lo+4
	s_addc_u32 s1, s1, _Z47ncclDevFunc_AllReduce_RING_SIMPLE_Sum_u64_1_0_1v@rel32@hi+12
	s_swappc_b64 s[30:31], s[0:1]
	s_mov_b64 s[0:1], 0
.LBB0_400:                              ;   in Loop: Header=BB0_84 Depth=1
	s_andn2_b64 vcc, exec, s[0:1]
	s_cbranch_vccnz .LBB0_402
; %bb.401:                              ;   in Loop: Header=BB0_84 Depth=1
	s_add_u32 s8, s36, 0x1000
	s_addc_u32 s9, s37, 0
	s_mov_b64 s[4:5], s[38:39]
	s_mov_b64 s[10:11], s[34:35]
	s_mov_b32 s12, s45
	s_mov_b32 s13, s44
	;; [unrolled: 1-line block ×3, first 2 shown]
	v_mov_b32_e32 v31, v40
	s_getpc_b64 s[0:1]
	s_add_u32 s0, s0, _Z47ncclDevFunc_AllReduce_RING_SIMPLE_Sum_u64_0_0_1v@rel32@lo+4
	s_addc_u32 s1, s1, _Z47ncclDevFunc_AllReduce_RING_SIMPLE_Sum_u64_0_0_1v@rel32@hi+12
	s_swappc_b64 s[30:31], s[0:1]
.LBB0_402:                              ;   in Loop: Header=BB0_84 Depth=1
	s_mov_b64 s[0:1], 0
.LBB0_403:                              ;   in Loop: Header=BB0_84 Depth=1
	s_andn2_b64 vcc, exec, s[0:1]
	s_cbranch_vccnz .LBB0_405
; %bb.404:                              ;   in Loop: Header=BB0_84 Depth=1
	s_add_u32 s8, s36, 0x1000
	s_addc_u32 s9, s37, 0
	s_mov_b64 s[4:5], s[38:39]
	s_mov_b64 s[10:11], s[34:35]
	s_mov_b32 s12, s45
	s_mov_b32 s13, s44
	;; [unrolled: 1-line block ×3, first 2 shown]
	v_mov_b32_e32 v31, v40
	s_getpc_b64 s[0:1]
	s_add_u32 s0, s0, _Z47ncclDevFunc_AllReduce_RING_SIMPLE_Sum_u32_1_0_1v@rel32@lo+4
	s_addc_u32 s1, s1, _Z47ncclDevFunc_AllReduce_RING_SIMPLE_Sum_u32_1_0_1v@rel32@hi+12
	s_swappc_b64 s[30:31], s[0:1]
.LBB0_405:                              ;   in Loop: Header=BB0_84 Depth=1
	s_mov_b64 s[0:1], 0
.LBB0_406:                              ;   in Loop: Header=BB0_84 Depth=1
	s_andn2_b64 vcc, exec, s[0:1]
	s_cbranch_vccnz .LBB0_422
; %bb.407:                              ;   in Loop: Header=BB0_84 Depth=1
	s_cmpk_gt_u32 s55, 0x5a
	s_mov_b64 s[0:1], -1
	s_cbranch_scc0 .LBB0_417
; %bb.408:                              ;   in Loop: Header=BB0_84 Depth=1
	v_cmp_lt_i16_e32 vcc, s55, v78
	s_cbranch_vccnz .LBB0_414
; %bb.409:                              ;   in Loop: Header=BB0_84 Depth=1
	v_cmp_ne_u16_e32 vcc, s55, v78
	s_cbranch_vccz .LBB0_411
; %bb.410:                              ;   in Loop: Header=BB0_84 Depth=1
	s_add_u32 s8, s36, 0x1000
	s_addc_u32 s9, s37, 0
	s_mov_b64 s[4:5], s[38:39]
	s_mov_b64 s[10:11], s[34:35]
	s_mov_b32 s12, s45
	s_mov_b32 s13, s44
	;; [unrolled: 1-line block ×3, first 2 shown]
	v_mov_b32_e32 v31, v40
	s_getpc_b64 s[0:1]
	s_add_u32 s0, s0, _Z47ncclDevFunc_AllReduce_RING_SIMPLE_Sum_u32_0_0_1v@rel32@lo+4
	s_addc_u32 s1, s1, _Z47ncclDevFunc_AllReduce_RING_SIMPLE_Sum_u32_0_0_1v@rel32@hi+12
	s_swappc_b64 s[30:31], s[0:1]
	s_mov_b64 s[0:1], 0
.LBB0_411:                              ;   in Loop: Header=BB0_84 Depth=1
	s_andn2_b64 vcc, exec, s[0:1]
	s_cbranch_vccnz .LBB0_413
; %bb.412:                              ;   in Loop: Header=BB0_84 Depth=1
	s_add_u32 s8, s36, 0x1000
	s_addc_u32 s9, s37, 0
	s_mov_b64 s[4:5], s[38:39]
	s_mov_b64 s[10:11], s[34:35]
	s_mov_b32 s12, s45
	s_mov_b32 s13, s44
	;; [unrolled: 1-line block ×3, first 2 shown]
	v_mov_b32_e32 v31, v40
	s_getpc_b64 s[0:1]
	s_add_u32 s0, s0, _Z46ncclDevFunc_AllReduce_RING_SIMPLE_Sum_u8_1_0_1v@rel32@lo+4
	s_addc_u32 s1, s1, _Z46ncclDevFunc_AllReduce_RING_SIMPLE_Sum_u8_1_0_1v@rel32@hi+12
	s_swappc_b64 s[30:31], s[0:1]
.LBB0_413:                              ;   in Loop: Header=BB0_84 Depth=1
	s_mov_b64 s[0:1], 0
.LBB0_414:                              ;   in Loop: Header=BB0_84 Depth=1
	s_andn2_b64 vcc, exec, s[0:1]
	s_cbranch_vccnz .LBB0_416
; %bb.415:                              ;   in Loop: Header=BB0_84 Depth=1
	s_add_u32 s8, s36, 0x1000
	s_addc_u32 s9, s37, 0
	s_mov_b64 s[4:5], s[38:39]
	s_mov_b64 s[10:11], s[34:35]
	s_mov_b32 s12, s45
	s_mov_b32 s13, s44
	;; [unrolled: 1-line block ×3, first 2 shown]
	v_mov_b32_e32 v31, v40
	s_getpc_b64 s[0:1]
	s_add_u32 s0, s0, _Z46ncclDevFunc_AllReduce_RING_SIMPLE_Sum_u8_0_0_1v@rel32@lo+4
	s_addc_u32 s1, s1, _Z46ncclDevFunc_AllReduce_RING_SIMPLE_Sum_u8_0_0_1v@rel32@hi+12
	s_swappc_b64 s[30:31], s[0:1]
.LBB0_416:                              ;   in Loop: Header=BB0_84 Depth=1
	s_mov_b64 s[0:1], 0
.LBB0_417:                              ;   in Loop: Header=BB0_84 Depth=1
	s_and_b64 vcc, exec, s[0:1]
	s_cbranch_vccz .LBB0_422
; %bb.418:                              ;   in Loop: Header=BB0_84 Depth=1
	s_cmpk_eq_i32 s55, 0x5a
	s_mov_b64 s[0:1], -1
	s_cbranch_scc1 .LBB0_420
; %bb.419:                              ;   in Loop: Header=BB0_84 Depth=1
	s_add_u32 s8, s36, 0x1000
	s_addc_u32 s9, s37, 0
	s_mov_b64 s[4:5], s[38:39]
	s_mov_b64 s[10:11], s[34:35]
	s_mov_b32 s12, s45
	s_mov_b32 s13, s44
	;; [unrolled: 1-line block ×3, first 2 shown]
	v_mov_b32_e32 v31, v40
	s_getpc_b64 s[0:1]
	s_add_u32 s0, s0, _Z54ncclDevFunc_ReduceScatter_RING_LL_SumPostDiv_u32_0_0_1v@rel32@lo+4
	s_addc_u32 s1, s1, _Z54ncclDevFunc_ReduceScatter_RING_LL_SumPostDiv_u32_0_0_1v@rel32@hi+12
	s_swappc_b64 s[30:31], s[0:1]
	s_mov_b64 s[0:1], 0
.LBB0_420:                              ;   in Loop: Header=BB0_84 Depth=1
	s_andn2_b64 vcc, exec, s[0:1]
	s_cbranch_vccnz .LBB0_422
; %bb.421:                              ;   in Loop: Header=BB0_84 Depth=1
	s_add_u32 s8, s36, 0x1000
	s_addc_u32 s9, s37, 0
	s_mov_b64 s[4:5], s[38:39]
	s_mov_b64 s[10:11], s[34:35]
	s_mov_b32 s12, s45
	s_mov_b32 s13, s44
	;; [unrolled: 1-line block ×3, first 2 shown]
	v_mov_b32_e32 v31, v40
	s_getpc_b64 s[0:1]
	s_add_u32 s0, s0, _Z54ncclDevFunc_ReduceScatter_RING_LL_SumPostDiv_u64_0_0_1v@rel32@lo+4
	s_addc_u32 s1, s1, _Z54ncclDevFunc_ReduceScatter_RING_LL_SumPostDiv_u64_0_0_1v@rel32@hi+12
	s_swappc_b64 s[30:31], s[0:1]
.LBB0_422:                              ;   in Loop: Header=BB0_84 Depth=1
	s_mov_b64 s[0:1], 0
.LBB0_423:                              ;   in Loop: Header=BB0_84 Depth=1
	s_andn2_b64 vcc, exec, s[0:1]
	s_cbranch_vccnz .LBB0_734
; %bb.424:                              ;   in Loop: Header=BB0_84 Depth=1
	s_cmp_gt_u32 s55, 43
	s_mov_b64 s[0:1], -1
	s_cbranch_scc0 .LBB0_579
; %bb.425:                              ;   in Loop: Header=BB0_84 Depth=1
	s_cmpk_gt_u32 s55, 0x41
	s_cbranch_scc0 .LBB0_508
; %bb.426:                              ;   in Loop: Header=BB0_84 Depth=1
	s_cmpk_gt_u32 s55, 0x4c
	;; [unrolled: 3-line block ×4, first 2 shown]
	s_cbranch_scc0 .LBB0_438
; %bb.429:                              ;   in Loop: Header=BB0_84 Depth=1
	v_cmp_lt_i16_e32 vcc, s55, v79
	s_cbranch_vccnz .LBB0_435
; %bb.430:                              ;   in Loop: Header=BB0_84 Depth=1
	v_cmp_ne_u16_e32 vcc, s55, v79
	s_cbranch_vccz .LBB0_432
; %bb.431:                              ;   in Loop: Header=BB0_84 Depth=1
	s_add_u32 s8, s36, 0x1000
	s_addc_u32 s9, s37, 0
	s_mov_b64 s[4:5], s[38:39]
	s_mov_b64 s[10:11], s[34:35]
	s_mov_b32 s12, s45
	s_mov_b32 s13, s44
	s_mov_b32 s14, s33
	v_mov_b32_e32 v31, v40
	s_getpc_b64 s[0:1]
	s_add_u32 s0, s0, _Z53ncclDevFunc_ReduceScatter_RING_LL_SumPostDiv_u8_0_0_1v@rel32@lo+4
	s_addc_u32 s1, s1, _Z53ncclDevFunc_ReduceScatter_RING_LL_SumPostDiv_u8_0_0_1v@rel32@hi+12
	s_swappc_b64 s[30:31], s[0:1]
	s_mov_b64 s[0:1], 0
.LBB0_432:                              ;   in Loop: Header=BB0_84 Depth=1
	s_andn2_b64 vcc, exec, s[0:1]
	s_cbranch_vccnz .LBB0_434
; %bb.433:                              ;   in Loop: Header=BB0_84 Depth=1
	s_add_u32 s8, s36, 0x1000
	s_addc_u32 s9, s37, 0
	s_mov_b64 s[4:5], s[38:39]
	s_mov_b64 s[10:11], s[34:35]
	s_mov_b32 s12, s45
	s_mov_b32 s13, s44
	;; [unrolled: 1-line block ×3, first 2 shown]
	v_mov_b32_e32 v31, v40
	s_getpc_b64 s[0:1]
	s_add_u32 s0, s0, _Z56ncclDevFunc_ReduceScatter_RING_LL_PreMulSum_f8e5m2_0_0_1v@rel32@lo+4
	s_addc_u32 s1, s1, _Z56ncclDevFunc_ReduceScatter_RING_LL_PreMulSum_f8e5m2_0_0_1v@rel32@hi+12
	s_swappc_b64 s[30:31], s[0:1]
.LBB0_434:                              ;   in Loop: Header=BB0_84 Depth=1
	s_mov_b64 s[0:1], 0
.LBB0_435:                              ;   in Loop: Header=BB0_84 Depth=1
	s_andn2_b64 vcc, exec, s[0:1]
	s_cbranch_vccnz .LBB0_437
; %bb.436:                              ;   in Loop: Header=BB0_84 Depth=1
	s_add_u32 s8, s36, 0x1000
	s_addc_u32 s9, s37, 0
	s_mov_b64 s[4:5], s[38:39]
	s_mov_b64 s[10:11], s[34:35]
	s_mov_b32 s12, s45
	s_mov_b32 s13, s44
	;; [unrolled: 1-line block ×3, first 2 shown]
	v_mov_b32_e32 v31, v40
	s_getpc_b64 s[0:1]
	s_add_u32 s0, s0, _Z56ncclDevFunc_ReduceScatter_RING_LL_PreMulSum_f8e4m3_0_0_1v@rel32@lo+4
	s_addc_u32 s1, s1, _Z56ncclDevFunc_ReduceScatter_RING_LL_PreMulSum_f8e4m3_0_0_1v@rel32@hi+12
	s_swappc_b64 s[30:31], s[0:1]
.LBB0_437:                              ;   in Loop: Header=BB0_84 Depth=1
	s_mov_b64 s[0:1], 0
.LBB0_438:                              ;   in Loop: Header=BB0_84 Depth=1
	s_and_b64 vcc, exec, s[0:1]
	s_cbranch_vccz .LBB0_447
; %bb.439:                              ;   in Loop: Header=BB0_84 Depth=1
	v_cmp_lt_i16_e32 vcc, s55, v88
	s_mov_b64 s[0:1], -1
	s_cbranch_vccnz .LBB0_445
; %bb.440:                              ;   in Loop: Header=BB0_84 Depth=1
	v_cmp_ne_u16_e32 vcc, s55, v88
	s_cbranch_vccz .LBB0_442
; %bb.441:                              ;   in Loop: Header=BB0_84 Depth=1
	s_add_u32 s8, s36, 0x1000
	s_addc_u32 s9, s37, 0
	s_mov_b64 s[4:5], s[38:39]
	s_mov_b64 s[10:11], s[34:35]
	s_mov_b32 s12, s45
	s_mov_b32 s13, s44
	;; [unrolled: 1-line block ×3, first 2 shown]
	v_mov_b32_e32 v31, v40
	s_getpc_b64 s[0:1]
	s_add_u32 s0, s0, _Z54ncclDevFunc_ReduceScatter_RING_LL_PreMulSum_bf16_0_0_1v@rel32@lo+4
	s_addc_u32 s1, s1, _Z54ncclDevFunc_ReduceScatter_RING_LL_PreMulSum_bf16_0_0_1v@rel32@hi+12
	s_swappc_b64 s[30:31], s[0:1]
	s_mov_b64 s[0:1], 0
.LBB0_442:                              ;   in Loop: Header=BB0_84 Depth=1
	s_andn2_b64 vcc, exec, s[0:1]
	s_cbranch_vccnz .LBB0_444
; %bb.443:                              ;   in Loop: Header=BB0_84 Depth=1
	s_add_u32 s8, s36, 0x1000
	s_addc_u32 s9, s37, 0
	s_mov_b64 s[4:5], s[38:39]
	s_mov_b64 s[10:11], s[34:35]
	s_mov_b32 s12, s45
	s_mov_b32 s13, s44
	;; [unrolled: 1-line block ×3, first 2 shown]
	v_mov_b32_e32 v31, v40
	s_getpc_b64 s[0:1]
	s_add_u32 s0, s0, _Z53ncclDevFunc_ReduceScatter_RING_LL_PreMulSum_f64_0_0_1v@rel32@lo+4
	s_addc_u32 s1, s1, _Z53ncclDevFunc_ReduceScatter_RING_LL_PreMulSum_f64_0_0_1v@rel32@hi+12
	s_swappc_b64 s[30:31], s[0:1]
.LBB0_444:                              ;   in Loop: Header=BB0_84 Depth=1
	s_mov_b64 s[0:1], 0
.LBB0_445:                              ;   in Loop: Header=BB0_84 Depth=1
	s_andn2_b64 vcc, exec, s[0:1]
	s_cbranch_vccnz .LBB0_447
; %bb.446:                              ;   in Loop: Header=BB0_84 Depth=1
	s_add_u32 s8, s36, 0x1000
	s_addc_u32 s9, s37, 0
	s_mov_b64 s[4:5], s[38:39]
	s_mov_b64 s[10:11], s[34:35]
	s_mov_b32 s12, s45
	s_mov_b32 s13, s44
	;; [unrolled: 1-line block ×3, first 2 shown]
	v_mov_b32_e32 v31, v40
	s_getpc_b64 s[0:1]
	s_add_u32 s0, s0, _Z53ncclDevFunc_ReduceScatter_RING_LL_PreMulSum_f32_0_0_1v@rel32@lo+4
	s_addc_u32 s1, s1, _Z53ncclDevFunc_ReduceScatter_RING_LL_PreMulSum_f32_0_0_1v@rel32@hi+12
	s_swappc_b64 s[30:31], s[0:1]
.LBB0_447:                              ;   in Loop: Header=BB0_84 Depth=1
	s_mov_b64 s[0:1], 0
.LBB0_448:                              ;   in Loop: Header=BB0_84 Depth=1
	s_andn2_b64 vcc, exec, s[0:1]
	s_cbranch_vccnz .LBB0_468
; %bb.449:                              ;   in Loop: Header=BB0_84 Depth=1
	s_cmpk_gt_u32 s55, 0x4f
	s_mov_b64 s[0:1], -1
	s_cbranch_scc0 .LBB0_459
; %bb.450:                              ;   in Loop: Header=BB0_84 Depth=1
	v_cmp_lt_i16_e32 vcc, s55, v89
	s_cbranch_vccnz .LBB0_456
; %bb.451:                              ;   in Loop: Header=BB0_84 Depth=1
	v_cmp_ne_u16_e32 vcc, s55, v89
	s_cbranch_vccz .LBB0_453
; %bb.452:                              ;   in Loop: Header=BB0_84 Depth=1
	s_add_u32 s8, s36, 0x1000
	s_addc_u32 s9, s37, 0
	s_mov_b64 s[4:5], s[38:39]
	s_mov_b64 s[10:11], s[34:35]
	s_mov_b32 s12, s45
	s_mov_b32 s13, s44
	;; [unrolled: 1-line block ×3, first 2 shown]
	v_mov_b32_e32 v31, v40
	s_getpc_b64 s[0:1]
	s_add_u32 s0, s0, _Z53ncclDevFunc_ReduceScatter_RING_LL_PreMulSum_f16_0_0_1v@rel32@lo+4
	s_addc_u32 s1, s1, _Z53ncclDevFunc_ReduceScatter_RING_LL_PreMulSum_f16_0_0_1v@rel32@hi+12
	s_swappc_b64 s[30:31], s[0:1]
	s_mov_b64 s[0:1], 0
.LBB0_453:                              ;   in Loop: Header=BB0_84 Depth=1
	s_andn2_b64 vcc, exec, s[0:1]
	s_cbranch_vccnz .LBB0_455
; %bb.454:                              ;   in Loop: Header=BB0_84 Depth=1
	s_add_u32 s8, s36, 0x1000
	s_addc_u32 s9, s37, 0
	s_mov_b64 s[4:5], s[38:39]
	s_mov_b64 s[10:11], s[34:35]
	s_mov_b32 s12, s45
	s_mov_b32 s13, s44
	;; [unrolled: 1-line block ×3, first 2 shown]
	v_mov_b32_e32 v31, v40
	s_getpc_b64 s[0:1]
	s_add_u32 s0, s0, _Z53ncclDevFunc_ReduceScatter_RING_LL_PreMulSum_u64_0_0_1v@rel32@lo+4
	s_addc_u32 s1, s1, _Z53ncclDevFunc_ReduceScatter_RING_LL_PreMulSum_u64_0_0_1v@rel32@hi+12
	s_swappc_b64 s[30:31], s[0:1]
.LBB0_455:                              ;   in Loop: Header=BB0_84 Depth=1
	s_mov_b64 s[0:1], 0
.LBB0_456:                              ;   in Loop: Header=BB0_84 Depth=1
	s_andn2_b64 vcc, exec, s[0:1]
	s_cbranch_vccnz .LBB0_458
; %bb.457:                              ;   in Loop: Header=BB0_84 Depth=1
	s_add_u32 s8, s36, 0x1000
	s_addc_u32 s9, s37, 0
	s_mov_b64 s[4:5], s[38:39]
	s_mov_b64 s[10:11], s[34:35]
	s_mov_b32 s12, s45
	s_mov_b32 s13, s44
	;; [unrolled: 1-line block ×3, first 2 shown]
	v_mov_b32_e32 v31, v40
	s_getpc_b64 s[0:1]
	s_add_u32 s0, s0, _Z53ncclDevFunc_ReduceScatter_RING_LL_PreMulSum_u32_0_0_1v@rel32@lo+4
	s_addc_u32 s1, s1, _Z53ncclDevFunc_ReduceScatter_RING_LL_PreMulSum_u32_0_0_1v@rel32@hi+12
	s_swappc_b64 s[30:31], s[0:1]
.LBB0_458:                              ;   in Loop: Header=BB0_84 Depth=1
	s_mov_b64 s[0:1], 0
.LBB0_459:                              ;   in Loop: Header=BB0_84 Depth=1
	s_and_b64 vcc, exec, s[0:1]
	s_cbranch_vccz .LBB0_468
; %bb.460:                              ;   in Loop: Header=BB0_84 Depth=1
	v_cmp_lt_i16_e32 vcc, s55, v90
	s_mov_b64 s[0:1], -1
	s_cbranch_vccnz .LBB0_466
; %bb.461:                              ;   in Loop: Header=BB0_84 Depth=1
	v_cmp_ne_u16_e32 vcc, s55, v90
	s_cbranch_vccz .LBB0_463
; %bb.462:                              ;   in Loop: Header=BB0_84 Depth=1
	s_add_u32 s8, s36, 0x1000
	s_addc_u32 s9, s37, 0
	s_mov_b64 s[4:5], s[38:39]
	s_mov_b64 s[10:11], s[34:35]
	s_mov_b32 s12, s45
	s_mov_b32 s13, s44
	;; [unrolled: 1-line block ×3, first 2 shown]
	v_mov_b32_e32 v31, v40
	s_getpc_b64 s[0:1]
	s_add_u32 s0, s0, _Z52ncclDevFunc_ReduceScatter_RING_LL_PreMulSum_u8_0_0_1v@rel32@lo+4
	s_addc_u32 s1, s1, _Z52ncclDevFunc_ReduceScatter_RING_LL_PreMulSum_u8_0_0_1v@rel32@hi+12
	s_swappc_b64 s[30:31], s[0:1]
	s_mov_b64 s[0:1], 0
.LBB0_463:                              ;   in Loop: Header=BB0_84 Depth=1
	s_andn2_b64 vcc, exec, s[0:1]
	s_cbranch_vccnz .LBB0_465
; %bb.464:                              ;   in Loop: Header=BB0_84 Depth=1
	s_add_u32 s8, s36, 0x1000
	s_addc_u32 s9, s37, 0
	s_mov_b64 s[4:5], s[38:39]
	s_mov_b64 s[10:11], s[34:35]
	s_mov_b32 s12, s45
	s_mov_b32 s13, s44
	;; [unrolled: 1-line block ×3, first 2 shown]
	v_mov_b32_e32 v31, v40
	s_getpc_b64 s[0:1]
	s_add_u32 s0, s0, _Z53ncclDevFunc_ReduceScatter_RING_LL_MinMax_f8e5m2_0_0_1v@rel32@lo+4
	s_addc_u32 s1, s1, _Z53ncclDevFunc_ReduceScatter_RING_LL_MinMax_f8e5m2_0_0_1v@rel32@hi+12
	s_swappc_b64 s[30:31], s[0:1]
.LBB0_465:                              ;   in Loop: Header=BB0_84 Depth=1
	s_mov_b64 s[0:1], 0
.LBB0_466:                              ;   in Loop: Header=BB0_84 Depth=1
	s_andn2_b64 vcc, exec, s[0:1]
	s_cbranch_vccnz .LBB0_468
; %bb.467:                              ;   in Loop: Header=BB0_84 Depth=1
	s_add_u32 s8, s36, 0x1000
	s_addc_u32 s9, s37, 0
	s_mov_b64 s[4:5], s[38:39]
	s_mov_b64 s[10:11], s[34:35]
	s_mov_b32 s12, s45
	s_mov_b32 s13, s44
	;; [unrolled: 1-line block ×3, first 2 shown]
	v_mov_b32_e32 v31, v40
	s_getpc_b64 s[0:1]
	s_add_u32 s0, s0, _Z53ncclDevFunc_ReduceScatter_RING_LL_MinMax_f8e4m3_0_0_1v@rel32@lo+4
	s_addc_u32 s1, s1, _Z53ncclDevFunc_ReduceScatter_RING_LL_MinMax_f8e4m3_0_0_1v@rel32@hi+12
	s_swappc_b64 s[30:31], s[0:1]
.LBB0_468:                              ;   in Loop: Header=BB0_84 Depth=1
	s_mov_b64 s[0:1], 0
.LBB0_469:                              ;   in Loop: Header=BB0_84 Depth=1
	s_andn2_b64 vcc, exec, s[0:1]
	s_cbranch_vccnz .LBB0_507
; %bb.470:                              ;   in Loop: Header=BB0_84 Depth=1
	s_cmpk_gt_u32 s55, 0x46
	s_mov_b64 s[0:1], -1
	s_cbranch_scc0 .LBB0_491
; %bb.471:                              ;   in Loop: Header=BB0_84 Depth=1
	s_cmpk_gt_u32 s55, 0x49
	s_cbranch_scc0 .LBB0_481
; %bb.472:                              ;   in Loop: Header=BB0_84 Depth=1
	v_cmp_lt_i16_e32 vcc, s55, v91
	s_cbranch_vccnz .LBB0_478
; %bb.473:                              ;   in Loop: Header=BB0_84 Depth=1
	v_cmp_ne_u16_e32 vcc, s55, v91
	s_cbranch_vccz .LBB0_475
; %bb.474:                              ;   in Loop: Header=BB0_84 Depth=1
	s_add_u32 s8, s36, 0x1000
	s_addc_u32 s9, s37, 0
	s_mov_b64 s[4:5], s[38:39]
	s_mov_b64 s[10:11], s[34:35]
	s_mov_b32 s12, s45
	s_mov_b32 s13, s44
	;; [unrolled: 1-line block ×3, first 2 shown]
	v_mov_b32_e32 v31, v40
	s_getpc_b64 s[0:1]
	s_add_u32 s0, s0, _Z51ncclDevFunc_ReduceScatter_RING_LL_MinMax_bf16_0_0_1v@rel32@lo+4
	s_addc_u32 s1, s1, _Z51ncclDevFunc_ReduceScatter_RING_LL_MinMax_bf16_0_0_1v@rel32@hi+12
	s_swappc_b64 s[30:31], s[0:1]
	s_mov_b64 s[0:1], 0
.LBB0_475:                              ;   in Loop: Header=BB0_84 Depth=1
	s_andn2_b64 vcc, exec, s[0:1]
	s_cbranch_vccnz .LBB0_477
; %bb.476:                              ;   in Loop: Header=BB0_84 Depth=1
	s_add_u32 s8, s36, 0x1000
	s_addc_u32 s9, s37, 0
	s_mov_b64 s[4:5], s[38:39]
	s_mov_b64 s[10:11], s[34:35]
	s_mov_b32 s12, s45
	s_mov_b32 s13, s44
	;; [unrolled: 1-line block ×3, first 2 shown]
	v_mov_b32_e32 v31, v40
	s_getpc_b64 s[0:1]
	s_add_u32 s0, s0, _Z50ncclDevFunc_ReduceScatter_RING_LL_MinMax_f64_0_0_1v@rel32@lo+4
	s_addc_u32 s1, s1, _Z50ncclDevFunc_ReduceScatter_RING_LL_MinMax_f64_0_0_1v@rel32@hi+12
	s_swappc_b64 s[30:31], s[0:1]
.LBB0_477:                              ;   in Loop: Header=BB0_84 Depth=1
	s_mov_b64 s[0:1], 0
.LBB0_478:                              ;   in Loop: Header=BB0_84 Depth=1
	s_andn2_b64 vcc, exec, s[0:1]
	s_cbranch_vccnz .LBB0_480
; %bb.479:                              ;   in Loop: Header=BB0_84 Depth=1
	s_add_u32 s8, s36, 0x1000
	s_addc_u32 s9, s37, 0
	s_mov_b64 s[4:5], s[38:39]
	s_mov_b64 s[10:11], s[34:35]
	s_mov_b32 s12, s45
	s_mov_b32 s13, s44
	;; [unrolled: 1-line block ×3, first 2 shown]
	v_mov_b32_e32 v31, v40
	s_getpc_b64 s[0:1]
	s_add_u32 s0, s0, _Z50ncclDevFunc_ReduceScatter_RING_LL_MinMax_f32_0_0_1v@rel32@lo+4
	s_addc_u32 s1, s1, _Z50ncclDevFunc_ReduceScatter_RING_LL_MinMax_f32_0_0_1v@rel32@hi+12
	s_swappc_b64 s[30:31], s[0:1]
.LBB0_480:                              ;   in Loop: Header=BB0_84 Depth=1
	s_mov_b64 s[0:1], 0
.LBB0_481:                              ;   in Loop: Header=BB0_84 Depth=1
	s_and_b64 vcc, exec, s[0:1]
	s_cbranch_vccz .LBB0_490
; %bb.482:                              ;   in Loop: Header=BB0_84 Depth=1
	v_cmp_lt_i16_e32 vcc, s55, v92
	s_mov_b64 s[0:1], -1
	s_cbranch_vccnz .LBB0_488
; %bb.483:                              ;   in Loop: Header=BB0_84 Depth=1
	v_cmp_ne_u16_e32 vcc, s55, v92
	s_cbranch_vccz .LBB0_485
; %bb.484:                              ;   in Loop: Header=BB0_84 Depth=1
	s_add_u32 s8, s36, 0x1000
	s_addc_u32 s9, s37, 0
	s_mov_b64 s[4:5], s[38:39]
	s_mov_b64 s[10:11], s[34:35]
	s_mov_b32 s12, s45
	s_mov_b32 s13, s44
	;; [unrolled: 1-line block ×3, first 2 shown]
	v_mov_b32_e32 v31, v40
	s_getpc_b64 s[0:1]
	s_add_u32 s0, s0, _Z50ncclDevFunc_ReduceScatter_RING_LL_MinMax_f16_0_0_1v@rel32@lo+4
	s_addc_u32 s1, s1, _Z50ncclDevFunc_ReduceScatter_RING_LL_MinMax_f16_0_0_1v@rel32@hi+12
	s_swappc_b64 s[30:31], s[0:1]
	s_mov_b64 s[0:1], 0
.LBB0_485:                              ;   in Loop: Header=BB0_84 Depth=1
	s_andn2_b64 vcc, exec, s[0:1]
	s_cbranch_vccnz .LBB0_487
; %bb.486:                              ;   in Loop: Header=BB0_84 Depth=1
	s_add_u32 s8, s36, 0x1000
	s_addc_u32 s9, s37, 0
	s_mov_b64 s[4:5], s[38:39]
	s_mov_b64 s[10:11], s[34:35]
	s_mov_b32 s12, s45
	s_mov_b32 s13, s44
	;; [unrolled: 1-line block ×3, first 2 shown]
	v_mov_b32_e32 v31, v40
	s_getpc_b64 s[0:1]
	s_add_u32 s0, s0, _Z50ncclDevFunc_ReduceScatter_RING_LL_MinMax_u64_0_0_1v@rel32@lo+4
	s_addc_u32 s1, s1, _Z50ncclDevFunc_ReduceScatter_RING_LL_MinMax_u64_0_0_1v@rel32@hi+12
	s_swappc_b64 s[30:31], s[0:1]
.LBB0_487:                              ;   in Loop: Header=BB0_84 Depth=1
	s_mov_b64 s[0:1], 0
.LBB0_488:                              ;   in Loop: Header=BB0_84 Depth=1
	s_andn2_b64 vcc, exec, s[0:1]
	s_cbranch_vccnz .LBB0_490
; %bb.489:                              ;   in Loop: Header=BB0_84 Depth=1
	s_add_u32 s8, s36, 0x1000
	s_addc_u32 s9, s37, 0
	s_mov_b64 s[4:5], s[38:39]
	s_mov_b64 s[10:11], s[34:35]
	s_mov_b32 s12, s45
	s_mov_b32 s13, s44
	;; [unrolled: 1-line block ×3, first 2 shown]
	v_mov_b32_e32 v31, v40
	s_getpc_b64 s[0:1]
	s_add_u32 s0, s0, _Z50ncclDevFunc_ReduceScatter_RING_LL_MinMax_u32_0_0_1v@rel32@lo+4
	s_addc_u32 s1, s1, _Z50ncclDevFunc_ReduceScatter_RING_LL_MinMax_u32_0_0_1v@rel32@hi+12
	s_swappc_b64 s[30:31], s[0:1]
.LBB0_490:                              ;   in Loop: Header=BB0_84 Depth=1
	s_mov_b64 s[0:1], 0
.LBB0_491:                              ;   in Loop: Header=BB0_84 Depth=1
	s_andn2_b64 vcc, exec, s[0:1]
	s_cbranch_vccnz .LBB0_507
; %bb.492:                              ;   in Loop: Header=BB0_84 Depth=1
	s_cmpk_gt_u32 s55, 0x43
	s_mov_b64 s[0:1], -1
	s_cbranch_scc0 .LBB0_502
; %bb.493:                              ;   in Loop: Header=BB0_84 Depth=1
	v_cmp_lt_i16_e32 vcc, s55, v93
	s_cbranch_vccnz .LBB0_499
; %bb.494:                              ;   in Loop: Header=BB0_84 Depth=1
	v_cmp_ne_u16_e32 vcc, s55, v93
	s_cbranch_vccz .LBB0_496
; %bb.495:                              ;   in Loop: Header=BB0_84 Depth=1
	s_add_u32 s8, s36, 0x1000
	s_addc_u32 s9, s37, 0
	s_mov_b64 s[4:5], s[38:39]
	s_mov_b64 s[10:11], s[34:35]
	s_mov_b32 s12, s45
	s_mov_b32 s13, s44
	;; [unrolled: 1-line block ×3, first 2 shown]
	v_mov_b32_e32 v31, v40
	s_getpc_b64 s[0:1]
	s_add_u32 s0, s0, _Z49ncclDevFunc_ReduceScatter_RING_LL_MinMax_u8_0_0_1v@rel32@lo+4
	s_addc_u32 s1, s1, _Z49ncclDevFunc_ReduceScatter_RING_LL_MinMax_u8_0_0_1v@rel32@hi+12
	s_swappc_b64 s[30:31], s[0:1]
	s_mov_b64 s[0:1], 0
.LBB0_496:                              ;   in Loop: Header=BB0_84 Depth=1
	s_andn2_b64 vcc, exec, s[0:1]
	s_cbranch_vccnz .LBB0_498
; %bb.497:                              ;   in Loop: Header=BB0_84 Depth=1
	s_add_u32 s8, s36, 0x1000
	s_addc_u32 s9, s37, 0
	s_mov_b64 s[4:5], s[38:39]
	s_mov_b64 s[10:11], s[34:35]
	s_mov_b32 s12, s45
	s_mov_b32 s13, s44
	;; [unrolled: 1-line block ×3, first 2 shown]
	v_mov_b32_e32 v31, v40
	s_getpc_b64 s[0:1]
	s_add_u32 s0, s0, _Z51ncclDevFunc_ReduceScatter_RING_LL_Prod_f8e5m2_0_0_1v@rel32@lo+4
	s_addc_u32 s1, s1, _Z51ncclDevFunc_ReduceScatter_RING_LL_Prod_f8e5m2_0_0_1v@rel32@hi+12
	s_swappc_b64 s[30:31], s[0:1]
.LBB0_498:                              ;   in Loop: Header=BB0_84 Depth=1
	s_mov_b64 s[0:1], 0
.LBB0_499:                              ;   in Loop: Header=BB0_84 Depth=1
	s_andn2_b64 vcc, exec, s[0:1]
	s_cbranch_vccnz .LBB0_501
; %bb.500:                              ;   in Loop: Header=BB0_84 Depth=1
	s_add_u32 s8, s36, 0x1000
	s_addc_u32 s9, s37, 0
	s_mov_b64 s[4:5], s[38:39]
	s_mov_b64 s[10:11], s[34:35]
	s_mov_b32 s12, s45
	s_mov_b32 s13, s44
	s_mov_b32 s14, s33
	v_mov_b32_e32 v31, v40
	s_getpc_b64 s[0:1]
	s_add_u32 s0, s0, _Z51ncclDevFunc_ReduceScatter_RING_LL_Prod_f8e4m3_0_0_1v@rel32@lo+4
	s_addc_u32 s1, s1, _Z51ncclDevFunc_ReduceScatter_RING_LL_Prod_f8e4m3_0_0_1v@rel32@hi+12
	s_swappc_b64 s[30:31], s[0:1]
.LBB0_501:                              ;   in Loop: Header=BB0_84 Depth=1
	s_mov_b64 s[0:1], 0
.LBB0_502:                              ;   in Loop: Header=BB0_84 Depth=1
	s_and_b64 vcc, exec, s[0:1]
	s_cbranch_vccz .LBB0_507
; %bb.503:                              ;   in Loop: Header=BB0_84 Depth=1
	s_cmpk_eq_i32 s55, 0x43
	s_mov_b64 s[0:1], -1
	s_cbranch_scc1 .LBB0_505
; %bb.504:                              ;   in Loop: Header=BB0_84 Depth=1
	s_add_u32 s8, s36, 0x1000
	s_addc_u32 s9, s37, 0
	s_mov_b64 s[4:5], s[38:39]
	s_mov_b64 s[10:11], s[34:35]
	s_mov_b32 s12, s45
	s_mov_b32 s13, s44
	;; [unrolled: 1-line block ×3, first 2 shown]
	v_mov_b32_e32 v31, v40
	s_getpc_b64 s[0:1]
	s_add_u32 s0, s0, _Z48ncclDevFunc_ReduceScatter_RING_LL_Prod_f64_0_0_1v@rel32@lo+4
	s_addc_u32 s1, s1, _Z48ncclDevFunc_ReduceScatter_RING_LL_Prod_f64_0_0_1v@rel32@hi+12
	s_swappc_b64 s[30:31], s[0:1]
	s_mov_b64 s[0:1], 0
.LBB0_505:                              ;   in Loop: Header=BB0_84 Depth=1
	s_andn2_b64 vcc, exec, s[0:1]
	s_cbranch_vccnz .LBB0_507
; %bb.506:                              ;   in Loop: Header=BB0_84 Depth=1
	s_add_u32 s8, s36, 0x1000
	s_addc_u32 s9, s37, 0
	s_mov_b64 s[4:5], s[38:39]
	s_mov_b64 s[10:11], s[34:35]
	s_mov_b32 s12, s45
	s_mov_b32 s13, s44
	;; [unrolled: 1-line block ×3, first 2 shown]
	v_mov_b32_e32 v31, v40
	s_getpc_b64 s[0:1]
	s_add_u32 s0, s0, _Z49ncclDevFunc_ReduceScatter_RING_LL_Prod_bf16_0_0_1v@rel32@lo+4
	s_addc_u32 s1, s1, _Z49ncclDevFunc_ReduceScatter_RING_LL_Prod_bf16_0_0_1v@rel32@hi+12
	s_swappc_b64 s[30:31], s[0:1]
.LBB0_507:                              ;   in Loop: Header=BB0_84 Depth=1
	s_mov_b64 s[0:1], 0
.LBB0_508:                              ;   in Loop: Header=BB0_84 Depth=1
	s_andn2_b64 vcc, exec, s[0:1]
	s_cbranch_vccnz .LBB0_578
; %bb.509:                              ;   in Loop: Header=BB0_84 Depth=1
	s_cmp_gt_u32 s55, 54
	s_mov_b64 s[0:1], -1
	s_cbranch_scc0 .LBB0_548
; %bb.510:                              ;   in Loop: Header=BB0_84 Depth=1
	s_cmp_gt_u32 s55, 59
	s_cbranch_scc0 .LBB0_531
; %bb.511:                              ;   in Loop: Header=BB0_84 Depth=1
	s_cmp_gt_u32 s55, 62
	s_cbranch_scc0 .LBB0_521
; %bb.512:                              ;   in Loop: Header=BB0_84 Depth=1
	v_cmp_lt_i16_e64 s[2:3], s55, 64
	s_and_b64 vcc, exec, s[2:3]
	s_cbranch_vccnz .LBB0_518
; %bb.513:                              ;   in Loop: Header=BB0_84 Depth=1
	v_cmp_ne_u16_e64 s[2:3], s55, 64
	s_and_b64 vcc, exec, s[2:3]
	s_cbranch_vccz .LBB0_515
; %bb.514:                              ;   in Loop: Header=BB0_84 Depth=1
	s_add_u32 s8, s36, 0x1000
	s_addc_u32 s9, s37, 0
	s_mov_b64 s[4:5], s[38:39]
	s_mov_b64 s[10:11], s[34:35]
	s_mov_b32 s12, s45
	s_mov_b32 s13, s44
	;; [unrolled: 1-line block ×3, first 2 shown]
	v_mov_b32_e32 v31, v40
	s_getpc_b64 s[0:1]
	s_add_u32 s0, s0, _Z48ncclDevFunc_ReduceScatter_RING_LL_Prod_f32_0_0_1v@rel32@lo+4
	s_addc_u32 s1, s1, _Z48ncclDevFunc_ReduceScatter_RING_LL_Prod_f32_0_0_1v@rel32@hi+12
	s_swappc_b64 s[30:31], s[0:1]
	s_mov_b64 s[0:1], 0
.LBB0_515:                              ;   in Loop: Header=BB0_84 Depth=1
	s_andn2_b64 vcc, exec, s[0:1]
	s_cbranch_vccnz .LBB0_517
; %bb.516:                              ;   in Loop: Header=BB0_84 Depth=1
	s_add_u32 s8, s36, 0x1000
	s_addc_u32 s9, s37, 0
	s_mov_b64 s[4:5], s[38:39]
	s_mov_b64 s[10:11], s[34:35]
	s_mov_b32 s12, s45
	s_mov_b32 s13, s44
	;; [unrolled: 1-line block ×3, first 2 shown]
	v_mov_b32_e32 v31, v40
	s_getpc_b64 s[0:1]
	s_add_u32 s0, s0, _Z48ncclDevFunc_ReduceScatter_RING_LL_Prod_f16_0_0_1v@rel32@lo+4
	s_addc_u32 s1, s1, _Z48ncclDevFunc_ReduceScatter_RING_LL_Prod_f16_0_0_1v@rel32@hi+12
	s_swappc_b64 s[30:31], s[0:1]
.LBB0_517:                              ;   in Loop: Header=BB0_84 Depth=1
	s_mov_b64 s[0:1], 0
.LBB0_518:                              ;   in Loop: Header=BB0_84 Depth=1
	s_andn2_b64 vcc, exec, s[0:1]
	s_cbranch_vccnz .LBB0_520
; %bb.519:                              ;   in Loop: Header=BB0_84 Depth=1
	s_add_u32 s8, s36, 0x1000
	s_addc_u32 s9, s37, 0
	s_mov_b64 s[4:5], s[38:39]
	s_mov_b64 s[10:11], s[34:35]
	s_mov_b32 s12, s45
	s_mov_b32 s13, s44
	;; [unrolled: 1-line block ×3, first 2 shown]
	v_mov_b32_e32 v31, v40
	s_getpc_b64 s[0:1]
	s_add_u32 s0, s0, _Z48ncclDevFunc_ReduceScatter_RING_LL_Prod_u64_0_0_1v@rel32@lo+4
	s_addc_u32 s1, s1, _Z48ncclDevFunc_ReduceScatter_RING_LL_Prod_u64_0_0_1v@rel32@hi+12
	s_swappc_b64 s[30:31], s[0:1]
.LBB0_520:                              ;   in Loop: Header=BB0_84 Depth=1
	s_mov_b64 s[0:1], 0
.LBB0_521:                              ;   in Loop: Header=BB0_84 Depth=1
	s_and_b64 vcc, exec, s[0:1]
	s_cbranch_vccz .LBB0_530
; %bb.522:                              ;   in Loop: Header=BB0_84 Depth=1
	v_cmp_lt_i16_e64 s[2:3], s55, 61
	s_mov_b64 s[0:1], -1
	s_and_b64 vcc, exec, s[2:3]
	s_cbranch_vccnz .LBB0_528
; %bb.523:                              ;   in Loop: Header=BB0_84 Depth=1
	v_cmp_ne_u16_e64 s[2:3], s55, 61
	s_and_b64 vcc, exec, s[2:3]
	s_cbranch_vccz .LBB0_525
; %bb.524:                              ;   in Loop: Header=BB0_84 Depth=1
	s_add_u32 s8, s36, 0x1000
	s_addc_u32 s9, s37, 0
	s_mov_b64 s[4:5], s[38:39]
	s_mov_b64 s[10:11], s[34:35]
	s_mov_b32 s12, s45
	s_mov_b32 s13, s44
	;; [unrolled: 1-line block ×3, first 2 shown]
	v_mov_b32_e32 v31, v40
	s_getpc_b64 s[0:1]
	s_add_u32 s0, s0, _Z48ncclDevFunc_ReduceScatter_RING_LL_Prod_u32_0_0_1v@rel32@lo+4
	s_addc_u32 s1, s1, _Z48ncclDevFunc_ReduceScatter_RING_LL_Prod_u32_0_0_1v@rel32@hi+12
	s_swappc_b64 s[30:31], s[0:1]
	s_mov_b64 s[0:1], 0
.LBB0_525:                              ;   in Loop: Header=BB0_84 Depth=1
	s_andn2_b64 vcc, exec, s[0:1]
	s_cbranch_vccnz .LBB0_527
; %bb.526:                              ;   in Loop: Header=BB0_84 Depth=1
	s_add_u32 s8, s36, 0x1000
	s_addc_u32 s9, s37, 0
	s_mov_b64 s[4:5], s[38:39]
	s_mov_b64 s[10:11], s[34:35]
	s_mov_b32 s12, s45
	s_mov_b32 s13, s44
	;; [unrolled: 1-line block ×3, first 2 shown]
	v_mov_b32_e32 v31, v40
	s_getpc_b64 s[0:1]
	s_add_u32 s0, s0, _Z47ncclDevFunc_ReduceScatter_RING_LL_Prod_u8_0_0_1v@rel32@lo+4
	s_addc_u32 s1, s1, _Z47ncclDevFunc_ReduceScatter_RING_LL_Prod_u8_0_0_1v@rel32@hi+12
	s_swappc_b64 s[30:31], s[0:1]
.LBB0_527:                              ;   in Loop: Header=BB0_84 Depth=1
	s_mov_b64 s[0:1], 0
.LBB0_528:                              ;   in Loop: Header=BB0_84 Depth=1
	s_andn2_b64 vcc, exec, s[0:1]
	s_cbranch_vccnz .LBB0_530
; %bb.529:                              ;   in Loop: Header=BB0_84 Depth=1
	s_add_u32 s8, s36, 0x1000
	s_addc_u32 s9, s37, 0
	s_mov_b64 s[4:5], s[38:39]
	s_mov_b64 s[10:11], s[34:35]
	s_mov_b32 s12, s45
	s_mov_b32 s13, s44
	;; [unrolled: 1-line block ×3, first 2 shown]
	v_mov_b32_e32 v31, v40
	s_getpc_b64 s[0:1]
	s_add_u32 s0, s0, _Z50ncclDevFunc_ReduceScatter_RING_LL_Sum_f8e5m2_0_0_1v@rel32@lo+4
	s_addc_u32 s1, s1, _Z50ncclDevFunc_ReduceScatter_RING_LL_Sum_f8e5m2_0_0_1v@rel32@hi+12
	s_swappc_b64 s[30:31], s[0:1]
.LBB0_530:                              ;   in Loop: Header=BB0_84 Depth=1
	s_mov_b64 s[0:1], 0
.LBB0_531:                              ;   in Loop: Header=BB0_84 Depth=1
	s_andn2_b64 vcc, exec, s[0:1]
	s_cbranch_vccnz .LBB0_547
; %bb.532:                              ;   in Loop: Header=BB0_84 Depth=1
	s_cmp_gt_u32 s55, 56
	s_mov_b64 s[0:1], -1
	s_cbranch_scc0 .LBB0_542
; %bb.533:                              ;   in Loop: Header=BB0_84 Depth=1
	v_cmp_lt_i16_e64 s[2:3], s55, 58
	s_and_b64 vcc, exec, s[2:3]
	s_cbranch_vccnz .LBB0_539
; %bb.534:                              ;   in Loop: Header=BB0_84 Depth=1
	v_cmp_ne_u16_e64 s[2:3], s55, 58
	s_and_b64 vcc, exec, s[2:3]
	s_cbranch_vccz .LBB0_536
; %bb.535:                              ;   in Loop: Header=BB0_84 Depth=1
	s_add_u32 s8, s36, 0x1000
	s_addc_u32 s9, s37, 0
	s_mov_b64 s[4:5], s[38:39]
	s_mov_b64 s[10:11], s[34:35]
	s_mov_b32 s12, s45
	s_mov_b32 s13, s44
	;; [unrolled: 1-line block ×3, first 2 shown]
	v_mov_b32_e32 v31, v40
	s_getpc_b64 s[0:1]
	s_add_u32 s0, s0, _Z50ncclDevFunc_ReduceScatter_RING_LL_Sum_f8e4m3_0_0_1v@rel32@lo+4
	s_addc_u32 s1, s1, _Z50ncclDevFunc_ReduceScatter_RING_LL_Sum_f8e4m3_0_0_1v@rel32@hi+12
	s_swappc_b64 s[30:31], s[0:1]
	s_mov_b64 s[0:1], 0
.LBB0_536:                              ;   in Loop: Header=BB0_84 Depth=1
	s_andn2_b64 vcc, exec, s[0:1]
	s_cbranch_vccnz .LBB0_538
; %bb.537:                              ;   in Loop: Header=BB0_84 Depth=1
	s_add_u32 s8, s36, 0x1000
	s_addc_u32 s9, s37, 0
	s_mov_b64 s[4:5], s[38:39]
	s_mov_b64 s[10:11], s[34:35]
	s_mov_b32 s12, s45
	s_mov_b32 s13, s44
	;; [unrolled: 1-line block ×3, first 2 shown]
	v_mov_b32_e32 v31, v40
	s_getpc_b64 s[0:1]
	s_add_u32 s0, s0, _Z48ncclDevFunc_ReduceScatter_RING_LL_Sum_bf16_0_0_1v@rel32@lo+4
	s_addc_u32 s1, s1, _Z48ncclDevFunc_ReduceScatter_RING_LL_Sum_bf16_0_0_1v@rel32@hi+12
	s_swappc_b64 s[30:31], s[0:1]
.LBB0_538:                              ;   in Loop: Header=BB0_84 Depth=1
	s_mov_b64 s[0:1], 0
.LBB0_539:                              ;   in Loop: Header=BB0_84 Depth=1
	s_andn2_b64 vcc, exec, s[0:1]
	s_cbranch_vccnz .LBB0_541
; %bb.540:                              ;   in Loop: Header=BB0_84 Depth=1
	s_add_u32 s8, s36, 0x1000
	s_addc_u32 s9, s37, 0
	s_mov_b64 s[4:5], s[38:39]
	s_mov_b64 s[10:11], s[34:35]
	s_mov_b32 s12, s45
	s_mov_b32 s13, s44
	;; [unrolled: 1-line block ×3, first 2 shown]
	v_mov_b32_e32 v31, v40
	s_getpc_b64 s[0:1]
	s_add_u32 s0, s0, _Z47ncclDevFunc_ReduceScatter_RING_LL_Sum_f64_0_0_1v@rel32@lo+4
	s_addc_u32 s1, s1, _Z47ncclDevFunc_ReduceScatter_RING_LL_Sum_f64_0_0_1v@rel32@hi+12
	s_swappc_b64 s[30:31], s[0:1]
.LBB0_541:                              ;   in Loop: Header=BB0_84 Depth=1
	s_mov_b64 s[0:1], 0
.LBB0_542:                              ;   in Loop: Header=BB0_84 Depth=1
	s_and_b64 vcc, exec, s[0:1]
	s_cbranch_vccz .LBB0_547
; %bb.543:                              ;   in Loop: Header=BB0_84 Depth=1
	s_cmp_eq_u32 s55, 56
	s_mov_b64 s[0:1], -1
	s_cbranch_scc1 .LBB0_545
; %bb.544:                              ;   in Loop: Header=BB0_84 Depth=1
	s_add_u32 s8, s36, 0x1000
	s_addc_u32 s9, s37, 0
	s_mov_b64 s[4:5], s[38:39]
	s_mov_b64 s[10:11], s[34:35]
	s_mov_b32 s12, s45
	s_mov_b32 s13, s44
	s_mov_b32 s14, s33
	v_mov_b32_e32 v31, v40
	s_getpc_b64 s[0:1]
	s_add_u32 s0, s0, _Z47ncclDevFunc_ReduceScatter_RING_LL_Sum_f16_0_0_1v@rel32@lo+4
	s_addc_u32 s1, s1, _Z47ncclDevFunc_ReduceScatter_RING_LL_Sum_f16_0_0_1v@rel32@hi+12
	s_swappc_b64 s[30:31], s[0:1]
	s_mov_b64 s[0:1], 0
.LBB0_545:                              ;   in Loop: Header=BB0_84 Depth=1
	s_andn2_b64 vcc, exec, s[0:1]
	s_cbranch_vccnz .LBB0_547
; %bb.546:                              ;   in Loop: Header=BB0_84 Depth=1
	s_add_u32 s8, s36, 0x1000
	s_addc_u32 s9, s37, 0
	s_mov_b64 s[4:5], s[38:39]
	s_mov_b64 s[10:11], s[34:35]
	s_mov_b32 s12, s45
	s_mov_b32 s13, s44
	;; [unrolled: 1-line block ×3, first 2 shown]
	v_mov_b32_e32 v31, v40
	s_getpc_b64 s[0:1]
	s_add_u32 s0, s0, _Z47ncclDevFunc_ReduceScatter_RING_LL_Sum_f32_0_0_1v@rel32@lo+4
	s_addc_u32 s1, s1, _Z47ncclDevFunc_ReduceScatter_RING_LL_Sum_f32_0_0_1v@rel32@hi+12
	s_swappc_b64 s[30:31], s[0:1]
.LBB0_547:                              ;   in Loop: Header=BB0_84 Depth=1
	s_mov_b64 s[0:1], 0
.LBB0_548:                              ;   in Loop: Header=BB0_84 Depth=1
	s_andn2_b64 vcc, exec, s[0:1]
	s_cbranch_vccnz .LBB0_578
; %bb.549:                              ;   in Loop: Header=BB0_84 Depth=1
	s_cmp_gt_u32 s55, 48
	s_mov_b64 s[0:1], -1
	s_cbranch_scc0 .LBB0_566
; %bb.550:                              ;   in Loop: Header=BB0_84 Depth=1
	s_cmp_gt_u32 s55, 51
	s_cbranch_scc0 .LBB0_560
; %bb.551:                              ;   in Loop: Header=BB0_84 Depth=1
	v_cmp_lt_i16_e64 s[2:3], s55, 53
	s_and_b64 vcc, exec, s[2:3]
	s_cbranch_vccnz .LBB0_557
; %bb.552:                              ;   in Loop: Header=BB0_84 Depth=1
	v_cmp_ne_u16_e64 s[2:3], s55, 53
	s_and_b64 vcc, exec, s[2:3]
	s_cbranch_vccz .LBB0_554
; %bb.553:                              ;   in Loop: Header=BB0_84 Depth=1
	s_add_u32 s8, s36, 0x1000
	s_addc_u32 s9, s37, 0
	s_mov_b64 s[4:5], s[38:39]
	s_mov_b64 s[10:11], s[34:35]
	s_mov_b32 s12, s45
	s_mov_b32 s13, s44
	s_mov_b32 s14, s33
	v_mov_b32_e32 v31, v40
	s_getpc_b64 s[0:1]
	s_add_u32 s0, s0, _Z47ncclDevFunc_ReduceScatter_RING_LL_Sum_u64_0_0_1v@rel32@lo+4
	s_addc_u32 s1, s1, _Z47ncclDevFunc_ReduceScatter_RING_LL_Sum_u64_0_0_1v@rel32@hi+12
	s_swappc_b64 s[30:31], s[0:1]
	s_mov_b64 s[0:1], 0
.LBB0_554:                              ;   in Loop: Header=BB0_84 Depth=1
	s_andn2_b64 vcc, exec, s[0:1]
	s_cbranch_vccnz .LBB0_556
; %bb.555:                              ;   in Loop: Header=BB0_84 Depth=1
	s_add_u32 s8, s36, 0x1000
	s_addc_u32 s9, s37, 0
	s_mov_b64 s[4:5], s[38:39]
	s_mov_b64 s[10:11], s[34:35]
	s_mov_b32 s12, s45
	s_mov_b32 s13, s44
	;; [unrolled: 1-line block ×3, first 2 shown]
	v_mov_b32_e32 v31, v40
	s_getpc_b64 s[0:1]
	s_add_u32 s0, s0, _Z47ncclDevFunc_ReduceScatter_RING_LL_Sum_u32_0_0_1v@rel32@lo+4
	s_addc_u32 s1, s1, _Z47ncclDevFunc_ReduceScatter_RING_LL_Sum_u32_0_0_1v@rel32@hi+12
	s_swappc_b64 s[30:31], s[0:1]
.LBB0_556:                              ;   in Loop: Header=BB0_84 Depth=1
	s_mov_b64 s[0:1], 0
.LBB0_557:                              ;   in Loop: Header=BB0_84 Depth=1
	s_andn2_b64 vcc, exec, s[0:1]
	s_cbranch_vccnz .LBB0_559
; %bb.558:                              ;   in Loop: Header=BB0_84 Depth=1
	s_add_u32 s8, s36, 0x1000
	s_addc_u32 s9, s37, 0
	s_mov_b64 s[4:5], s[38:39]
	s_mov_b64 s[10:11], s[34:35]
	s_mov_b32 s12, s45
	s_mov_b32 s13, s44
	;; [unrolled: 1-line block ×3, first 2 shown]
	v_mov_b32_e32 v31, v40
	s_getpc_b64 s[0:1]
	s_add_u32 s0, s0, _Z46ncclDevFunc_ReduceScatter_RING_LL_Sum_u8_0_0_1v@rel32@lo+4
	s_addc_u32 s1, s1, _Z46ncclDevFunc_ReduceScatter_RING_LL_Sum_u8_0_0_1v@rel32@hi+12
	s_swappc_b64 s[30:31], s[0:1]
.LBB0_559:                              ;   in Loop: Header=BB0_84 Depth=1
	s_mov_b64 s[0:1], 0
.LBB0_560:                              ;   in Loop: Header=BB0_84 Depth=1
	s_and_b64 vcc, exec, s[0:1]
	s_cbranch_vccz .LBB0_565
; %bb.561:                              ;   in Loop: Header=BB0_84 Depth=1
	s_cmp_lg_u32 s55, 49
	s_mov_b64 s[0:1], -1
	s_cbranch_scc0 .LBB0_563
; %bb.562:                              ;   in Loop: Header=BB0_84 Depth=1
	s_add_u32 s8, s36, 0x1000
	s_addc_u32 s9, s37, 0
	s_mov_b64 s[4:5], s[38:39]
	s_mov_b64 s[10:11], s[34:35]
	s_mov_b32 s12, s45
	s_mov_b32 s13, s44
	;; [unrolled: 1-line block ×3, first 2 shown]
	v_mov_b32_e32 v31, v40
	s_getpc_b64 s[0:1]
	s_add_u32 s0, s0, _Z45ncclDevFunc_AllGather_PAT_SIMPLE_Sum_i8_0_0_1v@rel32@lo+4
	s_addc_u32 s1, s1, _Z45ncclDevFunc_AllGather_PAT_SIMPLE_Sum_i8_0_0_1v@rel32@hi+12
	s_swappc_b64 s[30:31], s[0:1]
	s_mov_b64 s[0:1], 0
.LBB0_563:                              ;   in Loop: Header=BB0_84 Depth=1
	s_andn2_b64 vcc, exec, s[0:1]
	s_cbranch_vccnz .LBB0_565
; %bb.564:                              ;   in Loop: Header=BB0_84 Depth=1
	s_add_u32 s8, s36, 0x1000
	s_addc_u32 s9, s37, 0
	s_mov_b64 s[4:5], s[38:39]
	s_mov_b64 s[10:11], s[34:35]
	s_mov_b32 s12, s45
	s_mov_b32 s13, s44
	;; [unrolled: 1-line block ×3, first 2 shown]
	v_mov_b32_e32 v31, v40
	s_getpc_b64 s[0:1]
	s_add_u32 s0, s0, _Z41ncclDevFunc_AllGather_PAT_LL_Sum_i8_0_0_1v@rel32@lo+4
	s_addc_u32 s1, s1, _Z41ncclDevFunc_AllGather_PAT_LL_Sum_i8_0_0_1v@rel32@hi+12
	s_swappc_b64 s[30:31], s[0:1]
.LBB0_565:                              ;   in Loop: Header=BB0_84 Depth=1
	s_mov_b64 s[0:1], 0
.LBB0_566:                              ;   in Loop: Header=BB0_84 Depth=1
	s_andn2_b64 vcc, exec, s[0:1]
	s_cbranch_vccnz .LBB0_578
; %bb.567:                              ;   in Loop: Header=BB0_84 Depth=1
	s_cmp_gt_u32 s55, 45
	s_mov_b64 s[0:1], -1
	s_cbranch_scc0 .LBB0_573
; %bb.568:                              ;   in Loop: Header=BB0_84 Depth=1
	s_cmp_lg_u32 s55, 46
	s_cbranch_scc0 .LBB0_570
; %bb.569:                              ;   in Loop: Header=BB0_84 Depth=1
	s_add_u32 s8, s36, 0x1000
	s_addc_u32 s9, s37, 0
	s_mov_b64 s[4:5], s[38:39]
	s_mov_b64 s[10:11], s[34:35]
	s_mov_b32 s12, s45
	s_mov_b32 s13, s44
	;; [unrolled: 1-line block ×3, first 2 shown]
	v_mov_b32_e32 v31, v40
	s_getpc_b64 s[0:1]
	s_add_u32 s0, s0, _Z46ncclDevFunc_AllGather_RING_SIMPLE_Sum_i8_0_0_1v@rel32@lo+4
	s_addc_u32 s1, s1, _Z46ncclDevFunc_AllGather_RING_SIMPLE_Sum_i8_0_0_1v@rel32@hi+12
	s_swappc_b64 s[30:31], s[0:1]
	s_mov_b64 s[0:1], 0
.LBB0_570:                              ;   in Loop: Header=BB0_84 Depth=1
	s_andn2_b64 vcc, exec, s[0:1]
	s_cbranch_vccnz .LBB0_572
; %bb.571:                              ;   in Loop: Header=BB0_84 Depth=1
	s_add_u32 s8, s36, 0x1000
	s_addc_u32 s9, s37, 0
	s_mov_b64 s[4:5], s[38:39]
	s_mov_b64 s[10:11], s[34:35]
	s_mov_b32 s12, s45
	s_mov_b32 s13, s44
	;; [unrolled: 1-line block ×3, first 2 shown]
	v_mov_b32_e32 v31, v40
	s_getpc_b64 s[0:1]
	s_add_u32 s0, s0, _Z42ncclDevFunc_AllGather_RING_LL_Sum_i8_0_0_1v@rel32@lo+4
	s_addc_u32 s1, s1, _Z42ncclDevFunc_AllGather_RING_LL_Sum_i8_0_0_1v@rel32@hi+12
	s_swappc_b64 s[30:31], s[0:1]
.LBB0_572:                              ;   in Loop: Header=BB0_84 Depth=1
	s_mov_b64 s[0:1], 0
.LBB0_573:                              ;   in Loop: Header=BB0_84 Depth=1
	s_andn2_b64 vcc, exec, s[0:1]
	s_cbranch_vccnz .LBB0_578
; %bb.574:                              ;   in Loop: Header=BB0_84 Depth=1
	s_cmp_eq_u32 s55, 45
	s_mov_b64 s[0:1], -1
	s_cbranch_scc1 .LBB0_576
; %bb.575:                              ;   in Loop: Header=BB0_84 Depth=1
	s_add_u32 s8, s36, 0x1000
	s_addc_u32 s9, s37, 0
	s_mov_b64 s[4:5], s[38:39]
	s_mov_b64 s[10:11], s[34:35]
	s_mov_b32 s12, s45
	s_mov_b32 s13, s44
	;; [unrolled: 1-line block ×3, first 2 shown]
	v_mov_b32_e32 v31, v40
	s_getpc_b64 s[0:1]
	s_add_u32 s0, s0, _Z51ncclDevFunc_Reduce_RING_SIMPLE_SumPostDiv_u32_0_0_1v@rel32@lo+4
	s_addc_u32 s1, s1, _Z51ncclDevFunc_Reduce_RING_SIMPLE_SumPostDiv_u32_0_0_1v@rel32@hi+12
	s_swappc_b64 s[30:31], s[0:1]
	s_mov_b64 s[0:1], 0
.LBB0_576:                              ;   in Loop: Header=BB0_84 Depth=1
	s_andn2_b64 vcc, exec, s[0:1]
	s_cbranch_vccnz .LBB0_578
; %bb.577:                              ;   in Loop: Header=BB0_84 Depth=1
	s_add_u32 s8, s36, 0x1000
	s_addc_u32 s9, s37, 0
	s_mov_b64 s[4:5], s[38:39]
	s_mov_b64 s[10:11], s[34:35]
	s_mov_b32 s12, s45
	s_mov_b32 s13, s44
	;; [unrolled: 1-line block ×3, first 2 shown]
	v_mov_b32_e32 v31, v40
	s_getpc_b64 s[0:1]
	s_add_u32 s0, s0, _Z51ncclDevFunc_Reduce_RING_SIMPLE_SumPostDiv_u64_0_0_1v@rel32@lo+4
	s_addc_u32 s1, s1, _Z51ncclDevFunc_Reduce_RING_SIMPLE_SumPostDiv_u64_0_0_1v@rel32@hi+12
	s_swappc_b64 s[30:31], s[0:1]
.LBB0_578:                              ;   in Loop: Header=BB0_84 Depth=1
	s_mov_b64 s[0:1], 0
.LBB0_579:                              ;   in Loop: Header=BB0_84 Depth=1
	s_andn2_b64 vcc, exec, s[0:1]
	s_cbranch_vccnz .LBB0_734
; %bb.580:                              ;   in Loop: Header=BB0_84 Depth=1
	s_cmp_gt_u32 s55, 21
	s_mov_b64 s[0:1], -1
	s_cbranch_scc0 .LBB0_659
; %bb.581:                              ;   in Loop: Header=BB0_84 Depth=1
	s_cmp_gt_u32 s55, 32
	s_cbranch_scc0 .LBB0_620
; %bb.582:                              ;   in Loop: Header=BB0_84 Depth=1
	s_cmp_gt_u32 s55, 37
	;; [unrolled: 3-line block ×3, first 2 shown]
	s_cbranch_scc0 .LBB0_593
; %bb.584:                              ;   in Loop: Header=BB0_84 Depth=1
	v_cmp_lt_i16_e64 s[2:3], s55, 42
	s_and_b64 vcc, exec, s[2:3]
	s_cbranch_vccnz .LBB0_590
; %bb.585:                              ;   in Loop: Header=BB0_84 Depth=1
	v_cmp_ne_u16_e64 s[2:3], s55, 42
	s_and_b64 vcc, exec, s[2:3]
	s_cbranch_vccz .LBB0_587
; %bb.586:                              ;   in Loop: Header=BB0_84 Depth=1
	s_add_u32 s8, s36, 0x1000
	s_addc_u32 s9, s37, 0
	s_mov_b64 s[4:5], s[38:39]
	s_mov_b64 s[10:11], s[34:35]
	s_mov_b32 s12, s45
	s_mov_b32 s13, s44
	;; [unrolled: 1-line block ×3, first 2 shown]
	v_mov_b32_e32 v31, v40
	s_getpc_b64 s[0:1]
	s_add_u32 s0, s0, _Z50ncclDevFunc_Reduce_RING_SIMPLE_SumPostDiv_u8_0_0_1v@rel32@lo+4
	s_addc_u32 s1, s1, _Z50ncclDevFunc_Reduce_RING_SIMPLE_SumPostDiv_u8_0_0_1v@rel32@hi+12
	s_swappc_b64 s[30:31], s[0:1]
	s_mov_b64 s[0:1], 0
.LBB0_587:                              ;   in Loop: Header=BB0_84 Depth=1
	s_andn2_b64 vcc, exec, s[0:1]
	s_cbranch_vccnz .LBB0_589
; %bb.588:                              ;   in Loop: Header=BB0_84 Depth=1
	s_add_u32 s8, s36, 0x1000
	s_addc_u32 s9, s37, 0
	s_mov_b64 s[4:5], s[38:39]
	s_mov_b64 s[10:11], s[34:35]
	s_mov_b32 s12, s45
	s_mov_b32 s13, s44
	;; [unrolled: 1-line block ×3, first 2 shown]
	v_mov_b32_e32 v31, v40
	s_getpc_b64 s[0:1]
	s_add_u32 s0, s0, _Z53ncclDevFunc_Reduce_RING_SIMPLE_PreMulSum_f8e5m2_0_0_1v@rel32@lo+4
	s_addc_u32 s1, s1, _Z53ncclDevFunc_Reduce_RING_SIMPLE_PreMulSum_f8e5m2_0_0_1v@rel32@hi+12
	s_swappc_b64 s[30:31], s[0:1]
.LBB0_589:                              ;   in Loop: Header=BB0_84 Depth=1
	s_mov_b64 s[0:1], 0
.LBB0_590:                              ;   in Loop: Header=BB0_84 Depth=1
	s_andn2_b64 vcc, exec, s[0:1]
	s_cbranch_vccnz .LBB0_592
; %bb.591:                              ;   in Loop: Header=BB0_84 Depth=1
	s_add_u32 s8, s36, 0x1000
	s_addc_u32 s9, s37, 0
	s_mov_b64 s[4:5], s[38:39]
	s_mov_b64 s[10:11], s[34:35]
	s_mov_b32 s12, s45
	s_mov_b32 s13, s44
	;; [unrolled: 1-line block ×3, first 2 shown]
	v_mov_b32_e32 v31, v40
	s_getpc_b64 s[0:1]
	s_add_u32 s0, s0, _Z53ncclDevFunc_Reduce_RING_SIMPLE_PreMulSum_f8e4m3_0_0_1v@rel32@lo+4
	s_addc_u32 s1, s1, _Z53ncclDevFunc_Reduce_RING_SIMPLE_PreMulSum_f8e4m3_0_0_1v@rel32@hi+12
	s_swappc_b64 s[30:31], s[0:1]
.LBB0_592:                              ;   in Loop: Header=BB0_84 Depth=1
	s_mov_b64 s[0:1], 0
.LBB0_593:                              ;   in Loop: Header=BB0_84 Depth=1
	s_and_b64 vcc, exec, s[0:1]
	s_cbranch_vccz .LBB0_602
; %bb.594:                              ;   in Loop: Header=BB0_84 Depth=1
	v_cmp_lt_i16_e64 s[2:3], s55, 39
	s_mov_b64 s[0:1], -1
	s_and_b64 vcc, exec, s[2:3]
	s_cbranch_vccnz .LBB0_600
; %bb.595:                              ;   in Loop: Header=BB0_84 Depth=1
	v_cmp_ne_u16_e64 s[2:3], s55, 39
	s_and_b64 vcc, exec, s[2:3]
	s_cbranch_vccz .LBB0_597
; %bb.596:                              ;   in Loop: Header=BB0_84 Depth=1
	s_add_u32 s8, s36, 0x1000
	s_addc_u32 s9, s37, 0
	s_mov_b64 s[4:5], s[38:39]
	s_mov_b64 s[10:11], s[34:35]
	s_mov_b32 s12, s45
	s_mov_b32 s13, s44
	;; [unrolled: 1-line block ×3, first 2 shown]
	v_mov_b32_e32 v31, v40
	s_getpc_b64 s[0:1]
	s_add_u32 s0, s0, _Z51ncclDevFunc_Reduce_RING_SIMPLE_PreMulSum_bf16_0_1_1v@rel32@lo+4
	s_addc_u32 s1, s1, _Z51ncclDevFunc_Reduce_RING_SIMPLE_PreMulSum_bf16_0_1_1v@rel32@hi+12
	s_swappc_b64 s[30:31], s[0:1]
	s_mov_b64 s[0:1], 0
.LBB0_597:                              ;   in Loop: Header=BB0_84 Depth=1
	s_andn2_b64 vcc, exec, s[0:1]
	s_cbranch_vccnz .LBB0_599
; %bb.598:                              ;   in Loop: Header=BB0_84 Depth=1
	s_add_u32 s8, s36, 0x1000
	s_addc_u32 s9, s37, 0
	s_mov_b64 s[4:5], s[38:39]
	s_mov_b64 s[10:11], s[34:35]
	s_mov_b32 s12, s45
	s_mov_b32 s13, s44
	s_mov_b32 s14, s33
	v_mov_b32_e32 v31, v40
	s_getpc_b64 s[0:1]
	s_add_u32 s0, s0, _Z51ncclDevFunc_Reduce_RING_SIMPLE_PreMulSum_bf16_0_0_1v@rel32@lo+4
	s_addc_u32 s1, s1, _Z51ncclDevFunc_Reduce_RING_SIMPLE_PreMulSum_bf16_0_0_1v@rel32@hi+12
	s_swappc_b64 s[30:31], s[0:1]
.LBB0_599:                              ;   in Loop: Header=BB0_84 Depth=1
	s_mov_b64 s[0:1], 0
.LBB0_600:                              ;   in Loop: Header=BB0_84 Depth=1
	s_andn2_b64 vcc, exec, s[0:1]
	s_cbranch_vccnz .LBB0_602
; %bb.601:                              ;   in Loop: Header=BB0_84 Depth=1
	s_add_u32 s8, s36, 0x1000
	s_addc_u32 s9, s37, 0
	s_mov_b64 s[4:5], s[38:39]
	s_mov_b64 s[10:11], s[34:35]
	s_mov_b32 s12, s45
	s_mov_b32 s13, s44
	;; [unrolled: 1-line block ×3, first 2 shown]
	v_mov_b32_e32 v31, v40
	s_getpc_b64 s[0:1]
	s_add_u32 s0, s0, _Z50ncclDevFunc_Reduce_RING_SIMPLE_PreMulSum_f64_0_0_1v@rel32@lo+4
	s_addc_u32 s1, s1, _Z50ncclDevFunc_Reduce_RING_SIMPLE_PreMulSum_f64_0_0_1v@rel32@hi+12
	s_swappc_b64 s[30:31], s[0:1]
.LBB0_602:                              ;   in Loop: Header=BB0_84 Depth=1
	s_mov_b64 s[0:1], 0
.LBB0_603:                              ;   in Loop: Header=BB0_84 Depth=1
	s_andn2_b64 vcc, exec, s[0:1]
	s_cbranch_vccnz .LBB0_619
; %bb.604:                              ;   in Loop: Header=BB0_84 Depth=1
	s_cmp_gt_u32 s55, 34
	s_mov_b64 s[0:1], -1
	s_cbranch_scc0 .LBB0_614
; %bb.605:                              ;   in Loop: Header=BB0_84 Depth=1
	v_cmp_lt_i16_e64 s[2:3], s55, 36
	s_and_b64 vcc, exec, s[2:3]
	s_cbranch_vccnz .LBB0_611
; %bb.606:                              ;   in Loop: Header=BB0_84 Depth=1
	v_cmp_ne_u16_e64 s[2:3], s55, 36
	s_and_b64 vcc, exec, s[2:3]
	s_cbranch_vccz .LBB0_608
; %bb.607:                              ;   in Loop: Header=BB0_84 Depth=1
	s_add_u32 s8, s36, 0x1000
	s_addc_u32 s9, s37, 0
	s_mov_b64 s[4:5], s[38:39]
	s_mov_b64 s[10:11], s[34:35]
	s_mov_b32 s12, s45
	s_mov_b32 s13, s44
	;; [unrolled: 1-line block ×3, first 2 shown]
	v_mov_b32_e32 v31, v40
	s_getpc_b64 s[0:1]
	s_add_u32 s0, s0, _Z50ncclDevFunc_Reduce_RING_SIMPLE_PreMulSum_f32_0_0_1v@rel32@lo+4
	s_addc_u32 s1, s1, _Z50ncclDevFunc_Reduce_RING_SIMPLE_PreMulSum_f32_0_0_1v@rel32@hi+12
	s_swappc_b64 s[30:31], s[0:1]
	s_mov_b64 s[0:1], 0
.LBB0_608:                              ;   in Loop: Header=BB0_84 Depth=1
	s_andn2_b64 vcc, exec, s[0:1]
	s_cbranch_vccnz .LBB0_610
; %bb.609:                              ;   in Loop: Header=BB0_84 Depth=1
	s_add_u32 s8, s36, 0x1000
	s_addc_u32 s9, s37, 0
	s_mov_b64 s[4:5], s[38:39]
	s_mov_b64 s[10:11], s[34:35]
	s_mov_b32 s12, s45
	s_mov_b32 s13, s44
	;; [unrolled: 1-line block ×3, first 2 shown]
	v_mov_b32_e32 v31, v40
	s_getpc_b64 s[0:1]
	s_add_u32 s0, s0, _Z50ncclDevFunc_Reduce_RING_SIMPLE_PreMulSum_f16_0_0_1v@rel32@lo+4
	s_addc_u32 s1, s1, _Z50ncclDevFunc_Reduce_RING_SIMPLE_PreMulSum_f16_0_0_1v@rel32@hi+12
	s_swappc_b64 s[30:31], s[0:1]
.LBB0_610:                              ;   in Loop: Header=BB0_84 Depth=1
	s_mov_b64 s[0:1], 0
.LBB0_611:                              ;   in Loop: Header=BB0_84 Depth=1
	s_andn2_b64 vcc, exec, s[0:1]
	s_cbranch_vccnz .LBB0_613
; %bb.612:                              ;   in Loop: Header=BB0_84 Depth=1
	s_add_u32 s8, s36, 0x1000
	s_addc_u32 s9, s37, 0
	s_mov_b64 s[4:5], s[38:39]
	s_mov_b64 s[10:11], s[34:35]
	s_mov_b32 s12, s45
	s_mov_b32 s13, s44
	;; [unrolled: 1-line block ×3, first 2 shown]
	v_mov_b32_e32 v31, v40
	s_getpc_b64 s[0:1]
	s_add_u32 s0, s0, _Z50ncclDevFunc_Reduce_RING_SIMPLE_PreMulSum_u64_0_0_1v@rel32@lo+4
	s_addc_u32 s1, s1, _Z50ncclDevFunc_Reduce_RING_SIMPLE_PreMulSum_u64_0_0_1v@rel32@hi+12
	s_swappc_b64 s[30:31], s[0:1]
.LBB0_613:                              ;   in Loop: Header=BB0_84 Depth=1
	s_mov_b64 s[0:1], 0
.LBB0_614:                              ;   in Loop: Header=BB0_84 Depth=1
	s_and_b64 vcc, exec, s[0:1]
	s_cbranch_vccz .LBB0_619
; %bb.615:                              ;   in Loop: Header=BB0_84 Depth=1
	s_cmp_eq_u32 s55, 34
	s_mov_b64 s[0:1], -1
	s_cbranch_scc1 .LBB0_617
; %bb.616:                              ;   in Loop: Header=BB0_84 Depth=1
	s_add_u32 s8, s36, 0x1000
	s_addc_u32 s9, s37, 0
	s_mov_b64 s[4:5], s[38:39]
	s_mov_b64 s[10:11], s[34:35]
	s_mov_b32 s12, s45
	s_mov_b32 s13, s44
	;; [unrolled: 1-line block ×3, first 2 shown]
	v_mov_b32_e32 v31, v40
	s_getpc_b64 s[0:1]
	s_add_u32 s0, s0, _Z49ncclDevFunc_Reduce_RING_SIMPLE_PreMulSum_u8_0_0_1v@rel32@lo+4
	s_addc_u32 s1, s1, _Z49ncclDevFunc_Reduce_RING_SIMPLE_PreMulSum_u8_0_0_1v@rel32@hi+12
	s_swappc_b64 s[30:31], s[0:1]
	s_mov_b64 s[0:1], 0
.LBB0_617:                              ;   in Loop: Header=BB0_84 Depth=1
	s_andn2_b64 vcc, exec, s[0:1]
	s_cbranch_vccnz .LBB0_619
; %bb.618:                              ;   in Loop: Header=BB0_84 Depth=1
	s_add_u32 s8, s36, 0x1000
	s_addc_u32 s9, s37, 0
	s_mov_b64 s[4:5], s[38:39]
	s_mov_b64 s[10:11], s[34:35]
	s_mov_b32 s12, s45
	s_mov_b32 s13, s44
	s_mov_b32 s14, s33
	v_mov_b32_e32 v31, v40
	s_getpc_b64 s[0:1]
	s_add_u32 s0, s0, _Z50ncclDevFunc_Reduce_RING_SIMPLE_PreMulSum_u32_0_0_1v@rel32@lo+4
	s_addc_u32 s1, s1, _Z50ncclDevFunc_Reduce_RING_SIMPLE_PreMulSum_u32_0_0_1v@rel32@hi+12
	s_swappc_b64 s[30:31], s[0:1]
.LBB0_619:                              ;   in Loop: Header=BB0_84 Depth=1
	s_mov_b64 s[0:1], 0
.LBB0_620:                              ;   in Loop: Header=BB0_84 Depth=1
	s_andn2_b64 vcc, exec, s[0:1]
	s_cbranch_vccnz .LBB0_658
; %bb.621:                              ;   in Loop: Header=BB0_84 Depth=1
	s_cmp_gt_u32 s55, 26
	s_mov_b64 s[0:1], -1
	s_cbranch_scc0 .LBB0_642
; %bb.622:                              ;   in Loop: Header=BB0_84 Depth=1
	s_cmp_gt_u32 s55, 29
	s_cbranch_scc0 .LBB0_632
; %bb.623:                              ;   in Loop: Header=BB0_84 Depth=1
	v_cmp_lt_i16_e64 s[2:3], s55, 31
	s_and_b64 vcc, exec, s[2:3]
	s_cbranch_vccnz .LBB0_629
; %bb.624:                              ;   in Loop: Header=BB0_84 Depth=1
	v_cmp_ne_u16_e64 s[2:3], s55, 31
	s_and_b64 vcc, exec, s[2:3]
	s_cbranch_vccz .LBB0_626
; %bb.625:                              ;   in Loop: Header=BB0_84 Depth=1
	s_add_u32 s8, s36, 0x1000
	s_addc_u32 s9, s37, 0
	s_mov_b64 s[4:5], s[38:39]
	s_mov_b64 s[10:11], s[34:35]
	s_mov_b32 s12, s45
	s_mov_b32 s13, s44
	;; [unrolled: 1-line block ×3, first 2 shown]
	v_mov_b32_e32 v31, v40
	s_getpc_b64 s[0:1]
	s_add_u32 s0, s0, _Z50ncclDevFunc_Reduce_RING_SIMPLE_MinMax_f8e5m2_0_0_1v@rel32@lo+4
	s_addc_u32 s1, s1, _Z50ncclDevFunc_Reduce_RING_SIMPLE_MinMax_f8e5m2_0_0_1v@rel32@hi+12
	s_swappc_b64 s[30:31], s[0:1]
	s_mov_b64 s[0:1], 0
.LBB0_626:                              ;   in Loop: Header=BB0_84 Depth=1
	s_andn2_b64 vcc, exec, s[0:1]
	s_cbranch_vccnz .LBB0_628
; %bb.627:                              ;   in Loop: Header=BB0_84 Depth=1
	s_add_u32 s8, s36, 0x1000
	s_addc_u32 s9, s37, 0
	s_mov_b64 s[4:5], s[38:39]
	s_mov_b64 s[10:11], s[34:35]
	s_mov_b32 s12, s45
	s_mov_b32 s13, s44
	;; [unrolled: 1-line block ×3, first 2 shown]
	v_mov_b32_e32 v31, v40
	s_getpc_b64 s[0:1]
	s_add_u32 s0, s0, _Z50ncclDevFunc_Reduce_RING_SIMPLE_MinMax_f8e4m3_0_0_1v@rel32@lo+4
	s_addc_u32 s1, s1, _Z50ncclDevFunc_Reduce_RING_SIMPLE_MinMax_f8e4m3_0_0_1v@rel32@hi+12
	s_swappc_b64 s[30:31], s[0:1]
.LBB0_628:                              ;   in Loop: Header=BB0_84 Depth=1
	s_mov_b64 s[0:1], 0
.LBB0_629:                              ;   in Loop: Header=BB0_84 Depth=1
	s_andn2_b64 vcc, exec, s[0:1]
	s_cbranch_vccnz .LBB0_631
; %bb.630:                              ;   in Loop: Header=BB0_84 Depth=1
	s_add_u32 s8, s36, 0x1000
	s_addc_u32 s9, s37, 0
	s_mov_b64 s[4:5], s[38:39]
	s_mov_b64 s[10:11], s[34:35]
	s_mov_b32 s12, s45
	s_mov_b32 s13, s44
	;; [unrolled: 1-line block ×3, first 2 shown]
	v_mov_b32_e32 v31, v40
	s_getpc_b64 s[0:1]
	s_add_u32 s0, s0, _Z48ncclDevFunc_Reduce_RING_SIMPLE_MinMax_bf16_0_1_1v@rel32@lo+4
	s_addc_u32 s1, s1, _Z48ncclDevFunc_Reduce_RING_SIMPLE_MinMax_bf16_0_1_1v@rel32@hi+12
	s_swappc_b64 s[30:31], s[0:1]
.LBB0_631:                              ;   in Loop: Header=BB0_84 Depth=1
	s_mov_b64 s[0:1], 0
.LBB0_632:                              ;   in Loop: Header=BB0_84 Depth=1
	s_and_b64 vcc, exec, s[0:1]
	s_cbranch_vccz .LBB0_641
; %bb.633:                              ;   in Loop: Header=BB0_84 Depth=1
	v_cmp_lt_i16_e64 s[2:3], s55, 28
	s_mov_b64 s[0:1], -1
	s_and_b64 vcc, exec, s[2:3]
	s_cbranch_vccnz .LBB0_639
; %bb.634:                              ;   in Loop: Header=BB0_84 Depth=1
	v_cmp_ne_u16_e64 s[2:3], s55, 28
	s_and_b64 vcc, exec, s[2:3]
	s_cbranch_vccz .LBB0_636
; %bb.635:                              ;   in Loop: Header=BB0_84 Depth=1
	s_add_u32 s8, s36, 0x1000
	s_addc_u32 s9, s37, 0
	s_mov_b64 s[4:5], s[38:39]
	s_mov_b64 s[10:11], s[34:35]
	s_mov_b32 s12, s45
	s_mov_b32 s13, s44
	s_mov_b32 s14, s33
	v_mov_b32_e32 v31, v40
	s_getpc_b64 s[0:1]
	s_add_u32 s0, s0, _Z48ncclDevFunc_Reduce_RING_SIMPLE_MinMax_bf16_0_0_1v@rel32@lo+4
	s_addc_u32 s1, s1, _Z48ncclDevFunc_Reduce_RING_SIMPLE_MinMax_bf16_0_0_1v@rel32@hi+12
	s_swappc_b64 s[30:31], s[0:1]
	s_mov_b64 s[0:1], 0
.LBB0_636:                              ;   in Loop: Header=BB0_84 Depth=1
	s_andn2_b64 vcc, exec, s[0:1]
	s_cbranch_vccnz .LBB0_638
; %bb.637:                              ;   in Loop: Header=BB0_84 Depth=1
	s_add_u32 s8, s36, 0x1000
	s_addc_u32 s9, s37, 0
	s_mov_b64 s[4:5], s[38:39]
	s_mov_b64 s[10:11], s[34:35]
	s_mov_b32 s12, s45
	s_mov_b32 s13, s44
	;; [unrolled: 1-line block ×3, first 2 shown]
	v_mov_b32_e32 v31, v40
	s_getpc_b64 s[0:1]
	s_add_u32 s0, s0, _Z47ncclDevFunc_Reduce_RING_SIMPLE_MinMax_f64_0_0_1v@rel32@lo+4
	s_addc_u32 s1, s1, _Z47ncclDevFunc_Reduce_RING_SIMPLE_MinMax_f64_0_0_1v@rel32@hi+12
	s_swappc_b64 s[30:31], s[0:1]
.LBB0_638:                              ;   in Loop: Header=BB0_84 Depth=1
	s_mov_b64 s[0:1], 0
.LBB0_639:                              ;   in Loop: Header=BB0_84 Depth=1
	s_andn2_b64 vcc, exec, s[0:1]
	s_cbranch_vccnz .LBB0_641
; %bb.640:                              ;   in Loop: Header=BB0_84 Depth=1
	s_add_u32 s8, s36, 0x1000
	s_addc_u32 s9, s37, 0
	s_mov_b64 s[4:5], s[38:39]
	s_mov_b64 s[10:11], s[34:35]
	s_mov_b32 s12, s45
	s_mov_b32 s13, s44
	;; [unrolled: 1-line block ×3, first 2 shown]
	v_mov_b32_e32 v31, v40
	s_getpc_b64 s[0:1]
	s_add_u32 s0, s0, _Z47ncclDevFunc_Reduce_RING_SIMPLE_MinMax_f32_0_0_1v@rel32@lo+4
	s_addc_u32 s1, s1, _Z47ncclDevFunc_Reduce_RING_SIMPLE_MinMax_f32_0_0_1v@rel32@hi+12
	s_swappc_b64 s[30:31], s[0:1]
.LBB0_641:                              ;   in Loop: Header=BB0_84 Depth=1
	s_mov_b64 s[0:1], 0
.LBB0_642:                              ;   in Loop: Header=BB0_84 Depth=1
	s_andn2_b64 vcc, exec, s[0:1]
	s_cbranch_vccnz .LBB0_658
; %bb.643:                              ;   in Loop: Header=BB0_84 Depth=1
	s_cmp_gt_u32 s55, 23
	s_mov_b64 s[0:1], -1
	s_cbranch_scc0 .LBB0_653
; %bb.644:                              ;   in Loop: Header=BB0_84 Depth=1
	v_cmp_lt_i16_e64 s[2:3], s55, 25
	s_and_b64 vcc, exec, s[2:3]
	s_cbranch_vccnz .LBB0_650
; %bb.645:                              ;   in Loop: Header=BB0_84 Depth=1
	v_cmp_ne_u16_e64 s[2:3], s55, 25
	s_and_b64 vcc, exec, s[2:3]
	s_cbranch_vccz .LBB0_647
; %bb.646:                              ;   in Loop: Header=BB0_84 Depth=1
	s_add_u32 s8, s36, 0x1000
	s_addc_u32 s9, s37, 0
	s_mov_b64 s[4:5], s[38:39]
	s_mov_b64 s[10:11], s[34:35]
	s_mov_b32 s12, s45
	s_mov_b32 s13, s44
	s_mov_b32 s14, s33
	v_mov_b32_e32 v31, v40
	s_getpc_b64 s[0:1]
	s_add_u32 s0, s0, _Z47ncclDevFunc_Reduce_RING_SIMPLE_MinMax_f16_0_0_1v@rel32@lo+4
	s_addc_u32 s1, s1, _Z47ncclDevFunc_Reduce_RING_SIMPLE_MinMax_f16_0_0_1v@rel32@hi+12
	s_swappc_b64 s[30:31], s[0:1]
	s_mov_b64 s[0:1], 0
.LBB0_647:                              ;   in Loop: Header=BB0_84 Depth=1
	s_andn2_b64 vcc, exec, s[0:1]
	s_cbranch_vccnz .LBB0_649
; %bb.648:                              ;   in Loop: Header=BB0_84 Depth=1
	s_add_u32 s8, s36, 0x1000
	s_addc_u32 s9, s37, 0
	s_mov_b64 s[4:5], s[38:39]
	s_mov_b64 s[10:11], s[34:35]
	s_mov_b32 s12, s45
	s_mov_b32 s13, s44
	;; [unrolled: 1-line block ×3, first 2 shown]
	v_mov_b32_e32 v31, v40
	s_getpc_b64 s[0:1]
	s_add_u32 s0, s0, _Z47ncclDevFunc_Reduce_RING_SIMPLE_MinMax_u64_0_0_1v@rel32@lo+4
	s_addc_u32 s1, s1, _Z47ncclDevFunc_Reduce_RING_SIMPLE_MinMax_u64_0_0_1v@rel32@hi+12
	s_swappc_b64 s[30:31], s[0:1]
.LBB0_649:                              ;   in Loop: Header=BB0_84 Depth=1
	s_mov_b64 s[0:1], 0
.LBB0_650:                              ;   in Loop: Header=BB0_84 Depth=1
	s_andn2_b64 vcc, exec, s[0:1]
	s_cbranch_vccnz .LBB0_652
; %bb.651:                              ;   in Loop: Header=BB0_84 Depth=1
	s_add_u32 s8, s36, 0x1000
	s_addc_u32 s9, s37, 0
	s_mov_b64 s[4:5], s[38:39]
	s_mov_b64 s[10:11], s[34:35]
	s_mov_b32 s12, s45
	s_mov_b32 s13, s44
	;; [unrolled: 1-line block ×3, first 2 shown]
	v_mov_b32_e32 v31, v40
	s_getpc_b64 s[0:1]
	s_add_u32 s0, s0, _Z47ncclDevFunc_Reduce_RING_SIMPLE_MinMax_u32_0_0_1v@rel32@lo+4
	s_addc_u32 s1, s1, _Z47ncclDevFunc_Reduce_RING_SIMPLE_MinMax_u32_0_0_1v@rel32@hi+12
	s_swappc_b64 s[30:31], s[0:1]
.LBB0_652:                              ;   in Loop: Header=BB0_84 Depth=1
	s_mov_b64 s[0:1], 0
.LBB0_653:                              ;   in Loop: Header=BB0_84 Depth=1
	s_and_b64 vcc, exec, s[0:1]
	s_cbranch_vccz .LBB0_658
; %bb.654:                              ;   in Loop: Header=BB0_84 Depth=1
	s_cmp_eq_u32 s55, 23
	s_mov_b64 s[0:1], -1
	s_cbranch_scc1 .LBB0_656
; %bb.655:                              ;   in Loop: Header=BB0_84 Depth=1
	s_add_u32 s8, s36, 0x1000
	s_addc_u32 s9, s37, 0
	s_mov_b64 s[4:5], s[38:39]
	s_mov_b64 s[10:11], s[34:35]
	s_mov_b32 s12, s45
	s_mov_b32 s13, s44
	;; [unrolled: 1-line block ×3, first 2 shown]
	v_mov_b32_e32 v31, v40
	s_getpc_b64 s[0:1]
	s_add_u32 s0, s0, _Z48ncclDevFunc_Reduce_RING_SIMPLE_Prod_f8e5m2_0_0_1v@rel32@lo+4
	s_addc_u32 s1, s1, _Z48ncclDevFunc_Reduce_RING_SIMPLE_Prod_f8e5m2_0_0_1v@rel32@hi+12
	s_swappc_b64 s[30:31], s[0:1]
	s_mov_b64 s[0:1], 0
.LBB0_656:                              ;   in Loop: Header=BB0_84 Depth=1
	s_andn2_b64 vcc, exec, s[0:1]
	s_cbranch_vccnz .LBB0_658
; %bb.657:                              ;   in Loop: Header=BB0_84 Depth=1
	s_add_u32 s8, s36, 0x1000
	s_addc_u32 s9, s37, 0
	s_mov_b64 s[4:5], s[38:39]
	s_mov_b64 s[10:11], s[34:35]
	s_mov_b32 s12, s45
	s_mov_b32 s13, s44
	;; [unrolled: 1-line block ×3, first 2 shown]
	v_mov_b32_e32 v31, v40
	s_getpc_b64 s[0:1]
	s_add_u32 s0, s0, _Z46ncclDevFunc_Reduce_RING_SIMPLE_MinMax_u8_0_0_1v@rel32@lo+4
	s_addc_u32 s1, s1, _Z46ncclDevFunc_Reduce_RING_SIMPLE_MinMax_u8_0_0_1v@rel32@hi+12
	s_swappc_b64 s[30:31], s[0:1]
.LBB0_658:                              ;   in Loop: Header=BB0_84 Depth=1
	s_mov_b64 s[0:1], 0
.LBB0_659:                              ;   in Loop: Header=BB0_84 Depth=1
	s_andn2_b64 vcc, exec, s[0:1]
	s_cbranch_vccnz .LBB0_734
; %bb.660:                              ;   in Loop: Header=BB0_84 Depth=1
	s_cmp_gt_u32 s55, 10
	s_mov_b64 s[0:1], -1
	s_cbranch_scc0 .LBB0_699
; %bb.661:                              ;   in Loop: Header=BB0_84 Depth=1
	s_cmp_gt_u32 s55, 15
	s_cbranch_scc0 .LBB0_682
; %bb.662:                              ;   in Loop: Header=BB0_84 Depth=1
	s_cmp_gt_u32 s55, 18
	s_cbranch_scc0 .LBB0_672
; %bb.663:                              ;   in Loop: Header=BB0_84 Depth=1
	v_cmp_lt_i16_e64 s[2:3], s55, 20
	s_and_b64 vcc, exec, s[2:3]
	s_cbranch_vccnz .LBB0_669
; %bb.664:                              ;   in Loop: Header=BB0_84 Depth=1
	v_cmp_ne_u16_e64 s[2:3], s55, 20
	s_and_b64 vcc, exec, s[2:3]
	s_cbranch_vccz .LBB0_666
; %bb.665:                              ;   in Loop: Header=BB0_84 Depth=1
	s_add_u32 s8, s36, 0x1000
	s_addc_u32 s9, s37, 0
	s_mov_b64 s[4:5], s[38:39]
	s_mov_b64 s[10:11], s[34:35]
	s_mov_b32 s12, s45
	s_mov_b32 s13, s44
	;; [unrolled: 1-line block ×3, first 2 shown]
	v_mov_b32_e32 v31, v40
	s_getpc_b64 s[0:1]
	s_add_u32 s0, s0, _Z48ncclDevFunc_Reduce_RING_SIMPLE_Prod_f8e4m3_0_0_1v@rel32@lo+4
	s_addc_u32 s1, s1, _Z48ncclDevFunc_Reduce_RING_SIMPLE_Prod_f8e4m3_0_0_1v@rel32@hi+12
	s_swappc_b64 s[30:31], s[0:1]
	s_mov_b64 s[0:1], 0
.LBB0_666:                              ;   in Loop: Header=BB0_84 Depth=1
	s_andn2_b64 vcc, exec, s[0:1]
	s_cbranch_vccnz .LBB0_668
; %bb.667:                              ;   in Loop: Header=BB0_84 Depth=1
	s_add_u32 s8, s36, 0x1000
	s_addc_u32 s9, s37, 0
	s_mov_b64 s[4:5], s[38:39]
	s_mov_b64 s[10:11], s[34:35]
	s_mov_b32 s12, s45
	s_mov_b32 s13, s44
	;; [unrolled: 1-line block ×3, first 2 shown]
	v_mov_b32_e32 v31, v40
	s_getpc_b64 s[0:1]
	s_add_u32 s0, s0, _Z46ncclDevFunc_Reduce_RING_SIMPLE_Prod_bf16_0_1_1v@rel32@lo+4
	s_addc_u32 s1, s1, _Z46ncclDevFunc_Reduce_RING_SIMPLE_Prod_bf16_0_1_1v@rel32@hi+12
	s_swappc_b64 s[30:31], s[0:1]
.LBB0_668:                              ;   in Loop: Header=BB0_84 Depth=1
	s_mov_b64 s[0:1], 0
.LBB0_669:                              ;   in Loop: Header=BB0_84 Depth=1
	s_andn2_b64 vcc, exec, s[0:1]
	s_cbranch_vccnz .LBB0_671
; %bb.670:                              ;   in Loop: Header=BB0_84 Depth=1
	s_add_u32 s8, s36, 0x1000
	s_addc_u32 s9, s37, 0
	s_mov_b64 s[4:5], s[38:39]
	s_mov_b64 s[10:11], s[34:35]
	s_mov_b32 s12, s45
	s_mov_b32 s13, s44
	;; [unrolled: 1-line block ×3, first 2 shown]
	v_mov_b32_e32 v31, v40
	s_getpc_b64 s[0:1]
	s_add_u32 s0, s0, _Z46ncclDevFunc_Reduce_RING_SIMPLE_Prod_bf16_0_0_1v@rel32@lo+4
	s_addc_u32 s1, s1, _Z46ncclDevFunc_Reduce_RING_SIMPLE_Prod_bf16_0_0_1v@rel32@hi+12
	s_swappc_b64 s[30:31], s[0:1]
.LBB0_671:                              ;   in Loop: Header=BB0_84 Depth=1
	s_mov_b64 s[0:1], 0
.LBB0_672:                              ;   in Loop: Header=BB0_84 Depth=1
	s_and_b64 vcc, exec, s[0:1]
	s_cbranch_vccz .LBB0_681
; %bb.673:                              ;   in Loop: Header=BB0_84 Depth=1
	v_cmp_lt_i16_e64 s[2:3], s55, 17
	s_mov_b64 s[0:1], -1
	s_and_b64 vcc, exec, s[2:3]
	s_cbranch_vccnz .LBB0_679
; %bb.674:                              ;   in Loop: Header=BB0_84 Depth=1
	v_cmp_ne_u16_e64 s[2:3], s55, 17
	s_and_b64 vcc, exec, s[2:3]
	s_cbranch_vccz .LBB0_676
; %bb.675:                              ;   in Loop: Header=BB0_84 Depth=1
	s_add_u32 s8, s36, 0x1000
	s_addc_u32 s9, s37, 0
	s_mov_b64 s[4:5], s[38:39]
	s_mov_b64 s[10:11], s[34:35]
	s_mov_b32 s12, s45
	s_mov_b32 s13, s44
	;; [unrolled: 1-line block ×3, first 2 shown]
	v_mov_b32_e32 v31, v40
	s_getpc_b64 s[0:1]
	s_add_u32 s0, s0, _Z45ncclDevFunc_Reduce_RING_SIMPLE_Prod_f64_0_0_1v@rel32@lo+4
	s_addc_u32 s1, s1, _Z45ncclDevFunc_Reduce_RING_SIMPLE_Prod_f64_0_0_1v@rel32@hi+12
	s_swappc_b64 s[30:31], s[0:1]
	s_mov_b64 s[0:1], 0
.LBB0_676:                              ;   in Loop: Header=BB0_84 Depth=1
	s_andn2_b64 vcc, exec, s[0:1]
	s_cbranch_vccnz .LBB0_678
; %bb.677:                              ;   in Loop: Header=BB0_84 Depth=1
	s_add_u32 s8, s36, 0x1000
	s_addc_u32 s9, s37, 0
	s_mov_b64 s[4:5], s[38:39]
	s_mov_b64 s[10:11], s[34:35]
	s_mov_b32 s12, s45
	s_mov_b32 s13, s44
	;; [unrolled: 1-line block ×3, first 2 shown]
	v_mov_b32_e32 v31, v40
	s_getpc_b64 s[0:1]
	s_add_u32 s0, s0, _Z45ncclDevFunc_Reduce_RING_SIMPLE_Prod_f32_0_0_1v@rel32@lo+4
	s_addc_u32 s1, s1, _Z45ncclDevFunc_Reduce_RING_SIMPLE_Prod_f32_0_0_1v@rel32@hi+12
	s_swappc_b64 s[30:31], s[0:1]
.LBB0_678:                              ;   in Loop: Header=BB0_84 Depth=1
	s_mov_b64 s[0:1], 0
.LBB0_679:                              ;   in Loop: Header=BB0_84 Depth=1
	s_andn2_b64 vcc, exec, s[0:1]
	s_cbranch_vccnz .LBB0_681
; %bb.680:                              ;   in Loop: Header=BB0_84 Depth=1
	s_add_u32 s8, s36, 0x1000
	s_addc_u32 s9, s37, 0
	s_mov_b64 s[4:5], s[38:39]
	s_mov_b64 s[10:11], s[34:35]
	s_mov_b32 s12, s45
	s_mov_b32 s13, s44
	;; [unrolled: 1-line block ×3, first 2 shown]
	v_mov_b32_e32 v31, v40
	s_getpc_b64 s[0:1]
	s_add_u32 s0, s0, _Z45ncclDevFunc_Reduce_RING_SIMPLE_Prod_f16_0_0_1v@rel32@lo+4
	s_addc_u32 s1, s1, _Z45ncclDevFunc_Reduce_RING_SIMPLE_Prod_f16_0_0_1v@rel32@hi+12
	s_swappc_b64 s[30:31], s[0:1]
.LBB0_681:                              ;   in Loop: Header=BB0_84 Depth=1
	s_mov_b64 s[0:1], 0
.LBB0_682:                              ;   in Loop: Header=BB0_84 Depth=1
	s_andn2_b64 vcc, exec, s[0:1]
	s_cbranch_vccnz .LBB0_698
; %bb.683:                              ;   in Loop: Header=BB0_84 Depth=1
	s_cmp_gt_u32 s55, 12
	s_mov_b64 s[0:1], -1
	s_cbranch_scc0 .LBB0_693
; %bb.684:                              ;   in Loop: Header=BB0_84 Depth=1
	v_cmp_lt_i16_e64 s[2:3], s55, 14
	s_and_b64 vcc, exec, s[2:3]
	s_cbranch_vccnz .LBB0_690
; %bb.685:                              ;   in Loop: Header=BB0_84 Depth=1
	v_cmp_ne_u16_e64 s[2:3], s55, 14
	s_and_b64 vcc, exec, s[2:3]
	s_cbranch_vccz .LBB0_687
; %bb.686:                              ;   in Loop: Header=BB0_84 Depth=1
	s_add_u32 s8, s36, 0x1000
	s_addc_u32 s9, s37, 0
	s_mov_b64 s[4:5], s[38:39]
	s_mov_b64 s[10:11], s[34:35]
	s_mov_b32 s12, s45
	s_mov_b32 s13, s44
	;; [unrolled: 1-line block ×3, first 2 shown]
	v_mov_b32_e32 v31, v40
	s_getpc_b64 s[0:1]
	s_add_u32 s0, s0, _Z45ncclDevFunc_Reduce_RING_SIMPLE_Prod_u64_0_0_1v@rel32@lo+4
	s_addc_u32 s1, s1, _Z45ncclDevFunc_Reduce_RING_SIMPLE_Prod_u64_0_0_1v@rel32@hi+12
	s_swappc_b64 s[30:31], s[0:1]
	s_mov_b64 s[0:1], 0
.LBB0_687:                              ;   in Loop: Header=BB0_84 Depth=1
	s_andn2_b64 vcc, exec, s[0:1]
	s_cbranch_vccnz .LBB0_689
; %bb.688:                              ;   in Loop: Header=BB0_84 Depth=1
	s_add_u32 s8, s36, 0x1000
	s_addc_u32 s9, s37, 0
	s_mov_b64 s[4:5], s[38:39]
	s_mov_b64 s[10:11], s[34:35]
	s_mov_b32 s12, s45
	s_mov_b32 s13, s44
	;; [unrolled: 1-line block ×3, first 2 shown]
	v_mov_b32_e32 v31, v40
	s_getpc_b64 s[0:1]
	s_add_u32 s0, s0, _Z45ncclDevFunc_Reduce_RING_SIMPLE_Prod_u32_0_0_1v@rel32@lo+4
	s_addc_u32 s1, s1, _Z45ncclDevFunc_Reduce_RING_SIMPLE_Prod_u32_0_0_1v@rel32@hi+12
	s_swappc_b64 s[30:31], s[0:1]
.LBB0_689:                              ;   in Loop: Header=BB0_84 Depth=1
	s_mov_b64 s[0:1], 0
.LBB0_690:                              ;   in Loop: Header=BB0_84 Depth=1
	s_andn2_b64 vcc, exec, s[0:1]
	s_cbranch_vccnz .LBB0_692
; %bb.691:                              ;   in Loop: Header=BB0_84 Depth=1
	s_add_u32 s8, s36, 0x1000
	s_addc_u32 s9, s37, 0
	s_mov_b64 s[4:5], s[38:39]
	s_mov_b64 s[10:11], s[34:35]
	s_mov_b32 s12, s45
	s_mov_b32 s13, s44
	;; [unrolled: 1-line block ×3, first 2 shown]
	v_mov_b32_e32 v31, v40
	s_getpc_b64 s[0:1]
	s_add_u32 s0, s0, _Z44ncclDevFunc_Reduce_RING_SIMPLE_Prod_u8_0_0_1v@rel32@lo+4
	s_addc_u32 s1, s1, _Z44ncclDevFunc_Reduce_RING_SIMPLE_Prod_u8_0_0_1v@rel32@hi+12
	s_swappc_b64 s[30:31], s[0:1]
.LBB0_692:                              ;   in Loop: Header=BB0_84 Depth=1
	s_mov_b64 s[0:1], 0
.LBB0_693:                              ;   in Loop: Header=BB0_84 Depth=1
	s_and_b64 vcc, exec, s[0:1]
	s_cbranch_vccz .LBB0_698
; %bb.694:                              ;   in Loop: Header=BB0_84 Depth=1
	s_cmp_eq_u32 s55, 12
	s_mov_b64 s[0:1], -1
	s_cbranch_scc1 .LBB0_696
; %bb.695:                              ;   in Loop: Header=BB0_84 Depth=1
	s_add_u32 s8, s36, 0x1000
	s_addc_u32 s9, s37, 0
	s_mov_b64 s[4:5], s[38:39]
	s_mov_b64 s[10:11], s[34:35]
	s_mov_b32 s12, s45
	s_mov_b32 s13, s44
	;; [unrolled: 1-line block ×3, first 2 shown]
	v_mov_b32_e32 v31, v40
	s_getpc_b64 s[0:1]
	s_add_u32 s0, s0, _Z47ncclDevFunc_Reduce_RING_SIMPLE_Sum_f8e4m3_0_0_1v@rel32@lo+4
	s_addc_u32 s1, s1, _Z47ncclDevFunc_Reduce_RING_SIMPLE_Sum_f8e4m3_0_0_1v@rel32@hi+12
	s_swappc_b64 s[30:31], s[0:1]
	s_mov_b64 s[0:1], 0
.LBB0_696:                              ;   in Loop: Header=BB0_84 Depth=1
	s_andn2_b64 vcc, exec, s[0:1]
	s_cbranch_vccnz .LBB0_698
; %bb.697:                              ;   in Loop: Header=BB0_84 Depth=1
	s_add_u32 s8, s36, 0x1000
	s_addc_u32 s9, s37, 0
	s_mov_b64 s[4:5], s[38:39]
	s_mov_b64 s[10:11], s[34:35]
	s_mov_b32 s12, s45
	s_mov_b32 s13, s44
	;; [unrolled: 1-line block ×3, first 2 shown]
	v_mov_b32_e32 v31, v40
	s_getpc_b64 s[0:1]
	s_add_u32 s0, s0, _Z47ncclDevFunc_Reduce_RING_SIMPLE_Sum_f8e5m2_0_0_1v@rel32@lo+4
	s_addc_u32 s1, s1, _Z47ncclDevFunc_Reduce_RING_SIMPLE_Sum_f8e5m2_0_0_1v@rel32@hi+12
	s_swappc_b64 s[30:31], s[0:1]
.LBB0_698:                              ;   in Loop: Header=BB0_84 Depth=1
	s_mov_b64 s[0:1], 0
.LBB0_699:                              ;   in Loop: Header=BB0_84 Depth=1
	s_andn2_b64 vcc, exec, s[0:1]
	s_cbranch_vccnz .LBB0_734
; %bb.700:                              ;   in Loop: Header=BB0_84 Depth=1
	s_cmp_gt_u32 s55, 4
	s_mov_b64 s[0:1], -1
	s_cbranch_scc0 .LBB0_721
; %bb.701:                              ;   in Loop: Header=BB0_84 Depth=1
	s_cmp_gt_u32 s55, 7
	s_cbranch_scc0 .LBB0_711
; %bb.702:                              ;   in Loop: Header=BB0_84 Depth=1
	v_cmp_lt_i16_e64 s[2:3], s55, 9
	s_and_b64 vcc, exec, s[2:3]
	s_cbranch_vccnz .LBB0_708
; %bb.703:                              ;   in Loop: Header=BB0_84 Depth=1
	v_cmp_ne_u16_e64 s[2:3], s55, 9
	s_and_b64 vcc, exec, s[2:3]
	s_cbranch_vccz .LBB0_705
; %bb.704:                              ;   in Loop: Header=BB0_84 Depth=1
	s_add_u32 s8, s36, 0x1000
	s_addc_u32 s9, s37, 0
	s_mov_b64 s[4:5], s[38:39]
	s_mov_b64 s[10:11], s[34:35]
	s_mov_b32 s12, s45
	s_mov_b32 s13, s44
	s_mov_b32 s14, s33
	v_mov_b32_e32 v31, v40
	s_getpc_b64 s[0:1]
	s_add_u32 s0, s0, _Z45ncclDevFunc_Reduce_RING_SIMPLE_Sum_bf16_0_1_1v@rel32@lo+4
	s_addc_u32 s1, s1, _Z45ncclDevFunc_Reduce_RING_SIMPLE_Sum_bf16_0_1_1v@rel32@hi+12
	s_swappc_b64 s[30:31], s[0:1]
	s_mov_b64 s[0:1], 0
.LBB0_705:                              ;   in Loop: Header=BB0_84 Depth=1
	s_andn2_b64 vcc, exec, s[0:1]
	s_cbranch_vccnz .LBB0_707
; %bb.706:                              ;   in Loop: Header=BB0_84 Depth=1
	s_add_u32 s8, s36, 0x1000
	s_addc_u32 s9, s37, 0
	s_mov_b64 s[4:5], s[38:39]
	s_mov_b64 s[10:11], s[34:35]
	s_mov_b32 s12, s45
	s_mov_b32 s13, s44
	;; [unrolled: 1-line block ×3, first 2 shown]
	v_mov_b32_e32 v31, v40
	s_getpc_b64 s[0:1]
	s_add_u32 s0, s0, _Z45ncclDevFunc_Reduce_RING_SIMPLE_Sum_bf16_0_0_1v@rel32@lo+4
	s_addc_u32 s1, s1, _Z45ncclDevFunc_Reduce_RING_SIMPLE_Sum_bf16_0_0_1v@rel32@hi+12
	s_swappc_b64 s[30:31], s[0:1]
.LBB0_707:                              ;   in Loop: Header=BB0_84 Depth=1
	s_mov_b64 s[0:1], 0
.LBB0_708:                              ;   in Loop: Header=BB0_84 Depth=1
	s_andn2_b64 vcc, exec, s[0:1]
	s_cbranch_vccnz .LBB0_710
; %bb.709:                              ;   in Loop: Header=BB0_84 Depth=1
	s_add_u32 s8, s36, 0x1000
	s_addc_u32 s9, s37, 0
	s_mov_b64 s[4:5], s[38:39]
	s_mov_b64 s[10:11], s[34:35]
	s_mov_b32 s12, s45
	s_mov_b32 s13, s44
	;; [unrolled: 1-line block ×3, first 2 shown]
	v_mov_b32_e32 v31, v40
	s_getpc_b64 s[0:1]
	s_add_u32 s0, s0, _Z44ncclDevFunc_Reduce_RING_SIMPLE_Sum_f64_0_0_1v@rel32@lo+4
	s_addc_u32 s1, s1, _Z44ncclDevFunc_Reduce_RING_SIMPLE_Sum_f64_0_0_1v@rel32@hi+12
	s_swappc_b64 s[30:31], s[0:1]
.LBB0_710:                              ;   in Loop: Header=BB0_84 Depth=1
	s_mov_b64 s[0:1], 0
.LBB0_711:                              ;   in Loop: Header=BB0_84 Depth=1
	s_and_b64 vcc, exec, s[0:1]
	s_cbranch_vccz .LBB0_720
; %bb.712:                              ;   in Loop: Header=BB0_84 Depth=1
	v_cmp_lt_i16_e64 s[2:3], s55, 6
	s_mov_b64 s[0:1], -1
	s_and_b64 vcc, exec, s[2:3]
	s_cbranch_vccnz .LBB0_718
; %bb.713:                              ;   in Loop: Header=BB0_84 Depth=1
	v_cmp_ne_u16_e64 s[2:3], s55, 6
	s_and_b64 vcc, exec, s[2:3]
	s_cbranch_vccz .LBB0_715
; %bb.714:                              ;   in Loop: Header=BB0_84 Depth=1
	s_add_u32 s8, s36, 0x1000
	s_addc_u32 s9, s37, 0
	s_mov_b64 s[4:5], s[38:39]
	s_mov_b64 s[10:11], s[34:35]
	s_mov_b32 s12, s45
	s_mov_b32 s13, s44
	;; [unrolled: 1-line block ×3, first 2 shown]
	v_mov_b32_e32 v31, v40
	s_getpc_b64 s[0:1]
	s_add_u32 s0, s0, _Z44ncclDevFunc_Reduce_RING_SIMPLE_Sum_f32_0_0_1v@rel32@lo+4
	s_addc_u32 s1, s1, _Z44ncclDevFunc_Reduce_RING_SIMPLE_Sum_f32_0_0_1v@rel32@hi+12
	s_swappc_b64 s[30:31], s[0:1]
	s_mov_b64 s[0:1], 0
.LBB0_715:                              ;   in Loop: Header=BB0_84 Depth=1
	s_andn2_b64 vcc, exec, s[0:1]
	s_cbranch_vccnz .LBB0_717
; %bb.716:                              ;   in Loop: Header=BB0_84 Depth=1
	s_add_u32 s8, s36, 0x1000
	s_addc_u32 s9, s37, 0
	s_mov_b64 s[4:5], s[38:39]
	s_mov_b64 s[10:11], s[34:35]
	s_mov_b32 s12, s45
	s_mov_b32 s13, s44
	;; [unrolled: 1-line block ×3, first 2 shown]
	v_mov_b32_e32 v31, v40
	s_getpc_b64 s[0:1]
	s_add_u32 s0, s0, _Z44ncclDevFunc_Reduce_RING_SIMPLE_Sum_f16_0_0_1v@rel32@lo+4
	s_addc_u32 s1, s1, _Z44ncclDevFunc_Reduce_RING_SIMPLE_Sum_f16_0_0_1v@rel32@hi+12
	s_swappc_b64 s[30:31], s[0:1]
.LBB0_717:                              ;   in Loop: Header=BB0_84 Depth=1
	s_mov_b64 s[0:1], 0
.LBB0_718:                              ;   in Loop: Header=BB0_84 Depth=1
	s_andn2_b64 vcc, exec, s[0:1]
	s_cbranch_vccnz .LBB0_720
; %bb.719:                              ;   in Loop: Header=BB0_84 Depth=1
	s_add_u32 s8, s36, 0x1000
	s_addc_u32 s9, s37, 0
	s_mov_b64 s[4:5], s[38:39]
	s_mov_b64 s[10:11], s[34:35]
	s_mov_b32 s12, s45
	s_mov_b32 s13, s44
	;; [unrolled: 1-line block ×3, first 2 shown]
	v_mov_b32_e32 v31, v40
	s_getpc_b64 s[0:1]
	s_add_u32 s0, s0, _Z44ncclDevFunc_Reduce_RING_SIMPLE_Sum_u64_0_0_1v@rel32@lo+4
	s_addc_u32 s1, s1, _Z44ncclDevFunc_Reduce_RING_SIMPLE_Sum_u64_0_0_1v@rel32@hi+12
	s_swappc_b64 s[30:31], s[0:1]
.LBB0_720:                              ;   in Loop: Header=BB0_84 Depth=1
	s_mov_b64 s[0:1], 0
.LBB0_721:                              ;   in Loop: Header=BB0_84 Depth=1
	s_andn2_b64 vcc, exec, s[0:1]
	s_cbranch_vccnz .LBB0_734
; %bb.722:                              ;   in Loop: Header=BB0_84 Depth=1
	s_cmp_gt_u32 s55, 1
	s_mov_b64 s[0:1], -1
	s_cbranch_scc0 .LBB0_732
; %bb.723:                              ;   in Loop: Header=BB0_84 Depth=1
	v_cmp_lt_i16_e64 s[2:3], s55, 3
	s_and_b64 vcc, exec, s[2:3]
	s_cbranch_vccnz .LBB0_729
; %bb.724:                              ;   in Loop: Header=BB0_84 Depth=1
	v_cmp_ne_u16_e64 s[2:3], s55, 3
	s_and_b64 vcc, exec, s[2:3]
	s_cbranch_vccz .LBB0_726
; %bb.725:                              ;   in Loop: Header=BB0_84 Depth=1
	s_add_u32 s8, s36, 0x1000
	s_addc_u32 s9, s37, 0
	s_mov_b64 s[4:5], s[38:39]
	s_mov_b64 s[10:11], s[34:35]
	s_mov_b32 s12, s45
	s_mov_b32 s13, s44
	;; [unrolled: 1-line block ×3, first 2 shown]
	v_mov_b32_e32 v31, v40
	s_getpc_b64 s[0:1]
	s_add_u32 s0, s0, _Z44ncclDevFunc_Reduce_RING_SIMPLE_Sum_u32_0_0_1v@rel32@lo+4
	s_addc_u32 s1, s1, _Z44ncclDevFunc_Reduce_RING_SIMPLE_Sum_u32_0_0_1v@rel32@hi+12
	s_swappc_b64 s[30:31], s[0:1]
	s_mov_b64 s[0:1], 0
.LBB0_726:                              ;   in Loop: Header=BB0_84 Depth=1
	s_andn2_b64 vcc, exec, s[0:1]
	s_cbranch_vccnz .LBB0_728
; %bb.727:                              ;   in Loop: Header=BB0_84 Depth=1
	s_add_u32 s8, s36, 0x1000
	s_addc_u32 s9, s37, 0
	s_mov_b64 s[4:5], s[38:39]
	s_mov_b64 s[10:11], s[34:35]
	s_mov_b32 s12, s45
	s_mov_b32 s13, s44
	;; [unrolled: 1-line block ×3, first 2 shown]
	v_mov_b32_e32 v31, v40
	s_getpc_b64 s[0:1]
	s_add_u32 s0, s0, _Z43ncclDevFunc_Reduce_RING_SIMPLE_Sum_u8_0_0_1v@rel32@lo+4
	s_addc_u32 s1, s1, _Z43ncclDevFunc_Reduce_RING_SIMPLE_Sum_u8_0_0_1v@rel32@hi+12
	s_swappc_b64 s[30:31], s[0:1]
.LBB0_728:                              ;   in Loop: Header=BB0_84 Depth=1
	s_mov_b64 s[0:1], 0
.LBB0_729:                              ;   in Loop: Header=BB0_84 Depth=1
	s_andn2_b64 vcc, exec, s[0:1]
	s_cbranch_vccnz .LBB0_731
; %bb.730:                              ;   in Loop: Header=BB0_84 Depth=1
	s_add_u32 s8, s36, 0x1000
	s_addc_u32 s9, s37, 0
	s_mov_b64 s[4:5], s[38:39]
	s_mov_b64 s[10:11], s[34:35]
	s_mov_b32 s12, s45
	s_mov_b32 s13, s44
	;; [unrolled: 1-line block ×3, first 2 shown]
	v_mov_b32_e32 v31, v40
	s_getpc_b64 s[0:1]
	s_add_u32 s0, s0, _Z46ncclDevFunc_Broadcast_RING_SIMPLE_Sum_i8_0_0_1v@rel32@lo+4
	s_addc_u32 s1, s1, _Z46ncclDevFunc_Broadcast_RING_SIMPLE_Sum_i8_0_0_1v@rel32@hi+12
	s_swappc_b64 s[30:31], s[0:1]
.LBB0_731:                              ;   in Loop: Header=BB0_84 Depth=1
	s_mov_b64 s[0:1], 0
.LBB0_732:                              ;   in Loop: Header=BB0_84 Depth=1
	s_and_b64 vcc, exec, s[0:1]
	s_cbranch_vccz .LBB0_734
; %bb.733:                              ;   in Loop: Header=BB0_84 Depth=1
	s_add_u32 s8, s36, 0x1000
	s_addc_u32 s9, s37, 0
	s_mov_b64 s[4:5], s[38:39]
	s_mov_b64 s[10:11], s[34:35]
	s_mov_b32 s12, s45
	s_mov_b32 s13, s44
	;; [unrolled: 1-line block ×3, first 2 shown]
	v_mov_b32_e32 v31, v40
	s_getpc_b64 s[0:1]
	s_add_u32 s0, s0, _Z42ncclDevFunc_Broadcast_RING_LL_Sum_i8_0_0_1v@rel32@lo+4
	s_addc_u32 s1, s1, _Z42ncclDevFunc_Broadcast_RING_LL_Sum_i8_0_0_1v@rel32@hi+12
	s_swappc_b64 s[30:31], s[0:1]
.LBB0_734:                              ;   in Loop: Header=BB0_84 Depth=1
	ds_read_b32 v0, v43 offset:16996
	s_waitcnt lgkmcnt(0)
	v_cmp_eq_u32_e32 vcc, -1, v0
	v_readfirstlane_b32 s8, v0
	s_cbranch_vccnz .LBB0_749
; %bb.735:                              ;   in Loop: Header=BB0_84 Depth=1
	s_barrier
	s_and_saveexec_b64 s[0:1], s[46:47]
	s_cbranch_execz .LBB0_739
; %bb.736:                              ;   in Loop: Header=BB0_84 Depth=1
	s_and_saveexec_b64 s[2:3], s[42:43]
	s_cbranch_execz .LBB0_738
; %bb.737:                              ;   in Loop: Header=BB0_84 Depth=1
	v_mov_b32_e32 v42, v43
	ds_write_b64 v43, v[42:43] offset:19736
.LBB0_738:                              ;   in Loop: Header=BB0_84 Depth=1
	s_or_b64 exec, exec, s[2:3]
	v_mov_b32_e32 v42, v43
	ds_write_b64 v41, v[42:43]
.LBB0_739:                              ;   in Loop: Header=BB0_84 Depth=1
	s_or_b64 exec, exec, s[0:1]
	s_and_saveexec_b64 s[0:1], s[40:41]
	s_cbranch_execz .LBB0_751
; %bb.740:                              ;   in Loop: Header=BB0_84 Depth=1
	ds_read_b64 v[2:3], v43 offset:16976
	ds_read_b32 v4, v43 offset:17004
	s_waitcnt lgkmcnt(0)
	v_lshl_add_u64 v[0:1], v[2:3], 0, 1
	v_ashrrev_i32_e32 v5, 31, v4
	v_lshl_add_u64 v[6:7], v[2:3], 0, v[4:5]
	v_cmp_gt_u64_e32 vcc, v[0:1], v[6:7]
	s_cbranch_vccnz .LBB0_750
; %bb.741:                              ;   in Loop: Header=BB0_84 Depth=1
	ds_read_u8 v8, v43 offset:17000
	s_movk_i32 s4, 0x494e
	s_movk_i32 s5, 0x491a
	s_branch .LBB0_743
.LBB0_742:                              ;   in Loop: Header=BB0_743 Depth=2
	s_waitcnt lgkmcnt(0)
	v_ashrrev_i32_e32 v5, 31, v4
	v_lshl_add_u64 v[0:1], v[0:1], 0, 1
	v_lshl_add_u64 v[6:7], v[2:3], 0, v[4:5]
	v_cmp_le_u64_e32 vcc, v[0:1], v[6:7]
	s_add_i32 s4, s4, 64
	s_addk_i32 s5, 0x80
	s_cbranch_vccz .LBB0_750
.LBB0_743:                              ;   Parent Loop BB0_84 Depth=1
                                        ; =>  This Inner Loop Header: Depth=2
	s_waitcnt lgkmcnt(0)
	v_cmp_ne_u16_sdwa s[2:3], v8, v43 src0_sel:BYTE_0 src1_sel:DWORD
	s_and_b64 vcc, exec, s[2:3]
	s_cbranch_vccz .LBB0_748
; %bb.744:                              ;   in Loop: Header=BB0_743 Depth=2
	v_mov_b32_e32 v5, s5
	ds_read_u8 v5, v5
	s_waitcnt lgkmcnt(0)
	v_and_b32_e32 v5, 1, v5
	s_cbranch_execnz .LBB0_746
.LBB0_745:                              ;   in Loop: Header=BB0_743 Depth=2
	v_mov_b32_e32 v5, s4
	ds_read_u16 v5, v5
	s_waitcnt lgkmcnt(0)
	v_bfe_u32 v5, v5, 6, 1
.LBB0_746:                              ;   in Loop: Header=BB0_743 Depth=2
	v_cmp_eq_u32_e32 vcc, 0, v5
	s_cbranch_vccnz .LBB0_742
; %bb.747:                              ;   in Loop: Header=BB0_743 Depth=2
	s_memrealtime s[2:3]
	ds_read_u8 v8, v43 offset:17000
	ds_read_b32 v2, v43 offset:16496
	ds_read_b64 v[4:5], v43 offset:16600
	v_and_b32_e32 v6, 63, v0
	v_lshlrev_b32_e32 v42, 4, v6
	s_waitcnt lgkmcnt(0)
	v_ashrrev_i32_e32 v3, 31, v2
	v_lshlrev_b64 v[2:3], 10, v[2:3]
	v_lshl_add_u64 v[2:3], v[4:5], 0, v[2:3]
	v_lshl_add_u64 v[4:5], v[2:3], 0, v[42:43]
	v_mov_b32_e32 v2, s2
	v_mov_b32_e32 v3, s3
	flat_store_dwordx4 v[4:5], v[0:3]
	ds_read_b64 v[2:3], v43 offset:16976
	ds_read_b32 v4, v43 offset:17004
	s_branch .LBB0_742
.LBB0_748:                              ;   in Loop: Header=BB0_743 Depth=2
                                        ; implicit-def: $vgpr5
	s_branch .LBB0_745
.LBB0_749:                              ;   in Loop: Header=BB0_84 Depth=1
	s_cbranch_execz .LBB0_84
	s_branch .LBB0_70
.LBB0_750:                              ;   in Loop: Header=BB0_84 Depth=1
	ds_write_b64 v43, v[6:7] offset:16976
.LBB0_751:                              ;   in Loop: Header=BB0_84 Depth=1
	s_or_b64 exec, exec, s[0:1]
	s_mov_b32 s10, 0
	v_mov_b32_e32 v9, v56
                                        ; implicit-def: $vgpr0_vgpr1_vgpr2_vgpr3
	s_branch .LBB0_754
.LBB0_752:                              ;   in Loop: Header=BB0_754 Depth=2
	s_or_b64 exec, exec, s[6:7]
	s_mov_b32 s5, s8
	v_mov_b32_e32 v4, v9
.LBB0_753:                              ;   in Loop: Header=BB0_754 Depth=2
	s_andn2_b64 vcc, exec, s[2:3]
	s_mov_b32 s8, s5
	v_mov_b32_e32 v9, v4
	s_cbranch_vccz .LBB0_83
.LBB0_754:                              ;   Parent Loop BB0_84 Depth=1
                                        ; =>  This Inner Loop Header: Depth=2
	s_ashr_i32 s9, s8, 31
	s_lshl_b64 s[0:1], s[8:9], 4
	s_add_u32 s0, s51, s0
	s_addc_u32 s1, s52, s1
	s_load_dwordx4 s[4:7], s[0:1], 0x0
	s_waitcnt lgkmcnt(0)
	v_and_b32_e32 v5, s7, v45
	v_and_b32_e32 v4, s6, v44
	v_cmp_ne_u64_e32 vcc, 0, v[4:5]
	s_and_saveexec_b64 s[0:1], vcc
	s_cbranch_execz .LBB0_756
; %bb.755:                              ;   in Loop: Header=BB0_754 Depth=2
	v_and_b32_e32 v5, s6, v46
	v_and_b32_e32 v4, s7, v47
	v_bcnt_u32_b32 v5, v5, 0
	v_bcnt_u32_b32 v4, v4, v5
	v_add_u32_e32 v4, v57, v4
	ds_write_b8 v4, v56
.LBB0_756:                              ;   in Loop: Header=BB0_754 Depth=2
	s_or_b64 exec, exec, s[0:1]
	s_bcnt1_i32_b64 s11, s[6:7]
	s_bfe_u32 s9, s4, 0x2000f
	s_cmp_lt_i32 s9, 1
	s_cbranch_scc1 .LBB0_759
; %bb.757:                              ;   in Loop: Header=BB0_754 Depth=2
	s_cmp_lg_u32 s9, 1
	s_cbranch_scc0 .LBB0_760
; %bb.758:                              ;   in Loop: Header=BB0_754 Depth=2
	s_mov_b32 s13, 20
	v_mul_u32_u24_e64 v4, s11, 20
	s_movk_i32 s12, 0x140
	s_cbranch_execz .LBB0_761
	s_branch .LBB0_762
.LBB0_759:                              ;   in Loop: Header=BB0_754 Depth=2
                                        ; implicit-def: $vgpr4
                                        ; implicit-def: $sgpr12
                                        ; implicit-def: $sgpr13
	s_branch .LBB0_763
.LBB0_760:                              ;   in Loop: Header=BB0_754 Depth=2
                                        ; implicit-def: $vgpr4
                                        ; implicit-def: $sgpr12
                                        ; implicit-def: $sgpr13
.LBB0_761:                              ;   in Loop: Header=BB0_754 Depth=2
	s_lshl_b32 s0, s11, 3
	s_mov_b32 s13, 8
	s_movk_i32 s12, 0x80
	v_mov_b32_e32 v4, s0
.LBB0_762:                              ;   in Loop: Header=BB0_754 Depth=2
	s_cbranch_execnz .LBB0_764
.LBB0_763:                              ;   in Loop: Header=BB0_754 Depth=2
	s_lshl_b32 s0, s11, 2
	s_mov_b32 s12, 64
	s_mov_b32 s13, 4
	v_mov_b32_e32 v4, s0
.LBB0_764:                              ;   in Loop: Header=BB0_754 Depth=2
	v_cmp_eq_u32_e64 s[0:1], 0, v9
	s_and_saveexec_b64 s[2:3], s[0:1]
	s_cbranch_execz .LBB0_766
; %bb.765:                              ;   in Loop: Header=BB0_754 Depth=2
	v_mov_b32_e32 v5, s12
	ds_write_b32 v43, v5 offset:17008
	s_or_b64 exec, exec, s[2:3]
	v_cmp_lt_i32_e32 vcc, v9, v4
	s_and_saveexec_b64 s[6:7], vcc
	s_cbranch_execz .LBB0_774
	s_branch .LBB0_767
.LBB0_766:                              ;   in Loop: Header=BB0_754 Depth=2
	s_or_b64 exec, exec, s[2:3]
	v_cmp_lt_i32_e32 vcc, v9, v4
	s_and_saveexec_b64 s[6:7], vcc
	s_cbranch_execz .LBB0_774
.LBB0_767:                              ;   in Loop: Header=BB0_754 Depth=2
	v_cvt_f32_u32_e32 v4, s13
	s_sub_i32 s2, 0, s13
	v_sub_u32_e32 v6, 0, v9
	v_max_i32_e32 v6, v9, v6
	v_rcp_iflag_f32_e32 v4, v4
	v_ashrrev_i32_e32 v5, 31, v9
	v_mul_f32_e32 v4, 0x4f7ffffe, v4
	v_cvt_u32_f32_e32 v4, v4
	v_mul_lo_u32 v7, s2, v4
	v_mul_hi_u32 v7, v4, v7
	v_add_u32_e32 v4, v4, v7
	v_mul_hi_u32 v4, v6, v4
	v_mul_lo_u32 v7, v4, s13
	v_sub_u32_e32 v6, v6, v7
	v_add_u32_e32 v8, 1, v4
	v_cmp_le_u32_e32 vcc, s13, v6
	v_subrev_u32_e32 v7, s13, v6
	s_nop 0
	v_cndmask_b32_e32 v4, v4, v8, vcc
	v_cndmask_b32_e32 v6, v6, v7, vcc
	v_add_u32_e32 v7, 1, v4
	v_cmp_le_u32_e32 vcc, s13, v6
	ds_read_u8 v6, v43 offset:16472
	s_nop 0
	v_cndmask_b32_e32 v4, v4, v7, vcc
	v_xor_b32_e32 v4, v4, v5
	v_sub_u32_e32 v10, v4, v5
	v_add_u32_e32 v4, v57, v10
	ds_read_u8 v4, v4
	v_mul_lo_u32 v5, v10, s13
	v_sub_u32_e32 v5, v9, v5
	s_waitcnt lgkmcnt(0)
	v_cmp_ne_u16_e64 s[2:3], 0, v6
	s_and_b64 vcc, exec, s[2:3]
	v_lshlrev_b32_e32 v11, 4, v5
	s_cbranch_vccz .LBB0_770
; %bb.768:                              ;   in Loop: Header=BB0_754 Depth=2
	s_and_b64 vcc, exec, s[2:3]
	s_cbranch_vccz .LBB0_771
.LBB0_769:                              ;   in Loop: Header=BB0_754 Depth=2
	ds_read_b32 v12, v43 offset:16476
	ds_read_b64 v[6:7], v43 offset:16480
	v_mul_u32_u24_e32 v4, s12, v4
	v_lshlrev_b32_e32 v8, 4, v5
	v_add3_u32 v4, v8, s5, v4
	s_waitcnt lgkmcnt(0)
	v_and_b32_e32 v42, v12, v4
	v_lshl_add_u64 v[4:5], v[6:7], 0, v[42:43]
	flat_load_dwordx4 v[4:7], v[4:5]
	s_cbranch_execz .LBB0_772
	s_branch .LBB0_773
.LBB0_770:                              ;   in Loop: Header=BB0_754 Depth=2
	v_mul_u32_u24_e32 v0, s12, v4
	v_lshlrev_b32_e32 v1, 4, v5
	v_add3_u32 v0, v1, s5, v0
	global_load_dwordx4 v[0:3], v0, s[36:37]
	s_and_b64 vcc, exec, s[2:3]
	s_cbranch_vccnz .LBB0_769
.LBB0_771:                              ;   in Loop: Header=BB0_754 Depth=2
                                        ; implicit-def: $vgpr4_vgpr5_vgpr6_vgpr7
                                        ; implicit-def: $vgpr8
.LBB0_772:                              ;   in Loop: Header=BB0_754 Depth=2
	s_waitcnt vmcnt(0) lgkmcnt(0)
	v_mov_b64_e32 v[6:7], v[2:3]
	v_mov_b32_e32 v8, v11
	v_mov_b64_e32 v[4:5], v[0:1]
.LBB0_773:                              ;   in Loop: Header=BB0_754 Depth=2
	s_waitcnt vmcnt(0)
	v_add_u32_e32 v0, s10, v10
	v_mad_u64_u32 v[0:1], s[2:3], v0, s12, v[8:9]
	s_waitcnt lgkmcnt(0)
	ds_write_b128 v0, v[4:7] offset:18704
	v_mov_b64_e32 v[0:1], v[4:5]
	v_mov_b64_e32 v[2:3], v[6:7]
.LBB0_774:                              ;   in Loop: Header=BB0_754 Depth=2
	s_or_b64 exec, exec, s[6:7]
	s_bitcmp0_b32 s4, 14
	s_cselect_b64 s[2:3], -1, 0
	s_and_b64 vcc, exec, s[2:3]
	s_cbranch_vccnz .LBB0_776
; %bb.775:                              ;   in Loop: Header=BB0_754 Depth=2
	v_mov_b32_e32 v4, s50
	v_cmp_gt_i32_e32 vcc, 64, v9
	s_and_b32 s5, s4, 0x3fff
	s_add_i32 s5, s5, s8
	v_cndmask_b32_e32 v4, 0, v4, vcc
	v_add3_u32 v4, v9, v4, s54
	s_add_i32 s10, s10, s11
	s_cbranch_execnz .LBB0_753
	s_branch .LBB0_777
.LBB0_776:                              ;   in Loop: Header=BB0_754 Depth=2
                                        ; implicit-def: $vgpr4
                                        ; implicit-def: $sgpr5
	s_add_i32 s10, s10, s11
.LBB0_777:                              ;   in Loop: Header=BB0_754 Depth=2
	s_and_saveexec_b64 s[6:7], s[0:1]
	s_cbranch_execz .LBB0_752
; %bb.778:                              ;   in Loop: Header=BB0_754 Depth=2
	s_and_b32 s0, s4, 0x3fff
	s_add_i32 s1, s0, s8
	s_cmp_lg_u32 s0, 0
	s_cselect_b32 s0, s1, -1
	v_mov_b32_e32 v4, s8
	v_mov_b32_e32 v5, s0
	ds_write_b64 v43, v[4:5] offset:16992
	v_mov_b32_e32 v4, s9
	ds_write_b8 v43, v4 offset:17000
	v_mov_b32_e32 v4, s10
	s_lshr_b32 s0, s4, 17
	ds_write_b32 v43, v4 offset:17004
	v_mov_b32_e32 v4, s0
	v_mov_b32_e32 v9, 0
	ds_write_b16 v43, v4 offset:17002
	s_branch .LBB0_752
	.section	.rodata,"a",@progbits
	.p2align	6, 0x0
	.amdhsa_kernel _Z23ncclDevKernel_Generic_124ncclDevKernelArgsStorageILm4096EE
		.amdhsa_group_segment_fixed_size 19744
		.amdhsa_private_segment_fixed_size 0
		.amdhsa_kernarg_size 4352
		.amdhsa_user_sgpr_count 6
		.amdhsa_user_sgpr_dispatch_ptr 1
		.amdhsa_user_sgpr_queue_ptr 0
		.amdhsa_user_sgpr_kernarg_segment_ptr 1
		.amdhsa_user_sgpr_dispatch_id 1
		.amdhsa_user_sgpr_kernarg_preload_length 0
		.amdhsa_user_sgpr_kernarg_preload_offset 0
		.amdhsa_user_sgpr_private_segment_size 0
		.amdhsa_uses_dynamic_stack 1
		.amdhsa_enable_private_segment 1
		.amdhsa_system_sgpr_workgroup_id_x 1
		.amdhsa_system_sgpr_workgroup_id_y 1
		.amdhsa_system_sgpr_workgroup_id_z 1
		.amdhsa_system_sgpr_workgroup_info 0
		.amdhsa_system_vgpr_workitem_id 2
		.amdhsa_next_free_vgpr 94
		.amdhsa_next_free_sgpr 56
		.amdhsa_accum_offset 96
		.amdhsa_reserve_vcc 1
		.amdhsa_float_round_mode_32 0
		.amdhsa_float_round_mode_16_64 0
		.amdhsa_float_denorm_mode_32 3
		.amdhsa_float_denorm_mode_16_64 3
		.amdhsa_dx10_clamp 1
		.amdhsa_ieee_mode 1
		.amdhsa_fp16_overflow 0
		.amdhsa_tg_split 0
		.amdhsa_exception_fp_ieee_invalid_op 0
		.amdhsa_exception_fp_denorm_src 0
		.amdhsa_exception_fp_ieee_div_zero 0
		.amdhsa_exception_fp_ieee_overflow 0
		.amdhsa_exception_fp_ieee_underflow 0
		.amdhsa_exception_fp_ieee_inexact 0
		.amdhsa_exception_int_div_zero 0
	.end_amdhsa_kernel
	.text
.Lfunc_end0:
	.size	_Z23ncclDevKernel_Generic_124ncclDevKernelArgsStorageILm4096EE, .Lfunc_end0-_Z23ncclDevKernel_Generic_124ncclDevKernelArgsStorageILm4096EE
                                        ; -- End function
	.section	.AMDGPU.csdata,"",@progbits
; Kernel info:
; codeLenInByte = 19112
; NumSgprs: 62
; NumVgprs: 94
; NumAgprs: 0
; TotalNumVgprs: 94
; ScratchSize: 0
; MemoryBound: 1
; FloatMode: 240
; IeeeMode: 1
; LDSByteSize: 19744 bytes/workgroup (compile time only)
; SGPRBlocks: 7
; VGPRBlocks: 11
; NumSGPRsForWavesPerEU: 62
; NumVGPRsForWavesPerEU: 94
; AccumOffset: 96
; Occupancy: 3
; WaveLimiterHint : 0
; COMPUTE_PGM_RSRC2:SCRATCH_EN: 1
; COMPUTE_PGM_RSRC2:USER_SGPR: 6
; COMPUTE_PGM_RSRC2:TRAP_HANDLER: 0
; COMPUTE_PGM_RSRC2:TGID_X_EN: 1
; COMPUTE_PGM_RSRC2:TGID_Y_EN: 1
; COMPUTE_PGM_RSRC2:TGID_Z_EN: 1
; COMPUTE_PGM_RSRC2:TIDIG_COMP_CNT: 2
; COMPUTE_PGM_RSRC3_GFX90A:ACCUM_OFFSET: 23
; COMPUTE_PGM_RSRC3_GFX90A:TG_SPLIT: 0
	.text
	.protected	_Z23ncclDevKernel_Generic_224ncclDevKernelArgsStorageILm4096EE ; -- Begin function _Z23ncclDevKernel_Generic_224ncclDevKernelArgsStorageILm4096EE
	.globl	_Z23ncclDevKernel_Generic_224ncclDevKernelArgsStorageILm4096EE
	.p2align	8
	.type	_Z23ncclDevKernel_Generic_224ncclDevKernelArgsStorageILm4096EE,@function
_Z23ncclDevKernel_Generic_224ncclDevKernelArgsStorageILm4096EE: ; @_Z23ncclDevKernel_Generic_224ncclDevKernelArgsStorageILm4096EE
; %bb.0:
	v_mov_b32_e32 v40, v0
	v_and_b32_e32 v15, 0x3ff, v40
	s_mov_b32 s33, s8
	s_mov_b32 s44, s7
	;; [unrolled: 1-line block ×3, first 2 shown]
	s_mov_b64 s[34:35], s[4:5]
	s_mov_b64 s[36:37], s[2:3]
	;; [unrolled: 1-line block ×3, first 2 shown]
	v_cmp_gt_u32_e32 vcc, 12, v15
	s_mov_b32 s32, 0
	s_and_saveexec_b64 s[0:1], vcc
	s_cbranch_execz .LBB1_2
; %bb.1:
	v_lshlrev_b32_e32 v0, 2, v15
	global_load_dword v1, v0, s[36:37]
	s_waitcnt vmcnt(0)
	ds_write_b32 v0, v1 offset:16448
.LBB1_2:
	s_or_b64 exec, exec, s[0:1]
	s_load_dword s14, s[36:37], 0x100c
	v_lshrrev_b32_e32 v16, 6, v15
	v_cmp_lt_i32_e32 vcc, 0, v16
	s_and_saveexec_b64 s[0:1], vcc
	s_xor_b64 s[0:1], exec, s[0:1]
	s_cbranch_execz .LBB1_16
; %bb.3:
	v_cmp_lt_i32_e32 vcc, 2, v16
	s_and_saveexec_b64 s[2:3], vcc
	s_xor_b64 s[2:3], exec, s[2:3]
	s_cbranch_execz .LBB1_8
; %bb.4:
	v_cmp_eq_u32_e32 vcc, 3, v16
	s_and_saveexec_b64 s[4:5], vcc
	s_cbranch_execz .LBB1_7
; %bb.5:
	s_movk_i32 s6, 0xc0
	v_cmp_eq_u32_e32 vcc, s6, v15
	s_and_b64 exec, exec, vcc
	s_cbranch_execz .LBB1_7
; %bb.6:
	v_mov_b32_e32 v0, 0
	ds_write_b32 v0, v0 offset:16500
.LBB1_7:
	s_or_b64 exec, exec, s[4:5]
.LBB1_8:
	s_andn2_saveexec_b64 s[2:3], s[2:3]
	s_cbranch_execz .LBB1_15
; %bb.9:
	v_cmp_eq_u32_e32 vcc, 1, v16
	s_and_saveexec_b64 s[4:5], vcc
	s_cbranch_execz .LBB1_14
; %bb.10:
	s_movk_i32 s6, 0x44
	v_cmp_gt_u32_e32 vcc, s6, v15
	s_and_b64 exec, exec, vcc
	s_cbranch_execz .LBB1_14
; %bb.11:
	v_cmp_eq_u32_e32 vcc, 64, v15
	s_and_saveexec_b64 s[6:7], vcc
	s_cbranch_execz .LBB1_13
; %bb.12:
	v_mov_b32_e32 v0, 0
	v_mov_b32_e32 v1, v0
	ds_write_b64 v0, v[0:1] offset:19736
.LBB1_13:
	s_or_b64 exec, exec, s[6:7]
	s_movk_i32 s6, 0x160
	v_mov_b32_e32 v0, 0xffffeb98
	v_mad_u32_u24 v2, v15, s6, v0
	v_mov_b32_e32 v0, 0
	v_mov_b32_e32 v1, v0
	ds_write_b64 v2, v[0:1]
.LBB1_14:
	s_or_b64 exec, exec, s[4:5]
.LBB1_15:
	s_or_b64 exec, exec, s[2:3]
.LBB1_16:
	s_andn2_saveexec_b64 s[0:1], s[0:1]
	s_cbranch_execz .LBB1_22
; %bb.17:
	s_load_dwordx2 s[4:5], s[36:37], 0x8
	v_lshlrev_b64 v[2:3], v15, 1
	s_mov_b64 s[2:3], 0
	v_lshl_add_u64 v[0:1], v[2:3], 0, -1
                                        ; implicit-def: $sgpr10
	s_waitcnt lgkmcnt(0)
	v_and_b32_e32 v5, s5, v3
	v_and_b32_e32 v4, s4, v2
	v_cmp_eq_u64_e64 s[8:9], 0, v[4:5]
	v_cmp_ne_u64_e32 vcc, 0, v[4:5]
	s_and_saveexec_b64 s[6:7], vcc
	s_cbranch_execz .LBB1_58
; %bb.18:
	v_and_b32_e32 v5, s4, v0
	v_and_b32_e32 v4, s5, v1
	v_bcnt_u32_b32 v5, v5, 0
	v_bcnt_u32_b32 v4, v4, v5
	v_cmp_ne_u32_e32 vcc, s45, v4
	s_andn2_b64 s[8:9], s[8:9], exec
	s_and_b64 s[12:13], vcc, exec
	s_mov_b64 s[2:3], exec
	s_mov_b32 s10, 0
	s_or_b64 s[8:9], s[8:9], s[12:13]
	s_or_b64 exec, exec, s[6:7]
	v_mov_b32_e32 v4, s10
	s_and_saveexec_b64 s[6:7], s[8:9]
	s_cbranch_execnz .LBB1_59
.LBB1_19:
	s_or_b64 exec, exec, s[6:7]
	s_and_saveexec_b64 s[4:5], s[2:3]
	s_cbranch_execz .LBB1_21
.LBB1_20:
	v_add_u32_e32 v0, v4, v15
	v_mov_b32_e32 v1, 0
	ds_write_b32 v1, v0 offset:16496
.LBB1_21:
	s_or_b64 exec, exec, s[4:5]
.LBB1_22:
	s_or_b64 exec, exec, s[0:1]
	v_cmp_eq_u32_e64 s[40:41], 0, v15
	s_waitcnt lgkmcnt(0)
	s_barrier
	s_and_saveexec_b64 s[0:1], s[40:41]
	s_cbranch_execz .LBB1_24
; %bb.23:
	v_mov_b32_e32 v4, 0
	ds_read_b32 v2, v4 offset:16496
	ds_read_b64 v[0:1], v4 offset:16448
	s_movk_i32 s2, 0x180
	s_waitcnt lgkmcnt(1)
	v_mul_hi_i32 v3, v2, s2
	v_mul_lo_u32 v2, v2, s2
	s_waitcnt lgkmcnt(0)
	v_lshl_add_u64 v[0:1], v[0:1], 0, v[2:3]
	flat_load_dwordx2 v[0:1], v[0:1] offset:464
	ds_write_b32 v4, v4 offset:16500
	s_waitcnt vmcnt(0) lgkmcnt(0)
	ds_write_b64 v4, v[0:1] offset:16976
.LBB1_24:
	s_or_b64 exec, exec, s[0:1]
	s_and_b32 s50, 0xffff, s14
	v_cmp_lt_i32_e32 vcc, 0, v16
	s_mov_b64 s[0:1], 0
                                        ; implicit-def: $vgpr0_vgpr1
                                        ; implicit-def: $vgpr2
	s_and_saveexec_b64 s[2:3], vcc
	s_xor_b64 s[4:5], exec, s[2:3]
	s_cbranch_execz .LBB1_54
; %bb.25:
	v_cmp_ne_u32_e32 vcc, 1, v16
	s_and_saveexec_b64 s[0:1], vcc
	s_xor_b64 s[6:7], exec, s[0:1]
	s_cbranch_execz .LBB1_62
; %bb.26:
	v_add_u32_e32 v19, 0xffffff80, v15
	v_ashrrev_i16_e32 v0, 15, v19
	v_lshrrev_b16_e32 v0, 10, v0
	v_add_u16_e32 v0, v19, v0
	v_and_b32_e32 v0, 0xffffffc0, v0
	v_sub_u16_e32 v17, v19, v0
	s_add_i32 s14, s50, 0xffffff80
	v_bfe_i32 v0, v17, 0, 16
	v_lshlrev_b64 v[8:9], v0, 1
	s_add_u32 s16, s36, 48
	s_movk_i32 s15, 0xffc0
	v_mul_u32_u24_e32 v18, 0x1010, v16
	v_lshl_add_u64 v[10:11], v[8:9], 0, -1
	s_addc_u32 s17, s37, 0
	s_mov_b32 s18, 0
	v_mov_b32_e32 v13, 0
	s_mov_b32 s8, s45
                                        ; implicit-def: $vgpr0_vgpr1_vgpr2_vgpr3
	s_branch .LBB1_29
.LBB1_27:                               ;   in Loop: Header=BB1_29 Depth=1
	s_or_b64 exec, exec, s[12:13]
	s_mov_b32 s11, s8
	v_mov_b32_e32 v4, v19
.LBB1_28:                               ;   in Loop: Header=BB1_29 Depth=1
	s_and_b64 vcc, exec, s[2:3]
	s_mov_b32 s8, s11
	v_mov_b32_e32 v19, v4
	s_cbranch_vccnz .LBB1_62
.LBB1_29:                               ; =>This Inner Loop Header: Depth=1
	s_ashr_i32 s9, s8, 31
	s_lshl_b64 s[0:1], s[8:9], 4
	s_add_u32 s0, s16, s0
	s_addc_u32 s1, s17, s1
	s_load_dwordx2 s[2:3], s[0:1], 0x8
	s_waitcnt lgkmcnt(0)
	v_and_b32_e32 v5, s3, v9
	v_and_b32_e32 v4, s2, v8
	v_cmp_ne_u64_e32 vcc, 0, v[4:5]
	s_and_saveexec_b64 s[10:11], vcc
	s_cbranch_execz .LBB1_31
; %bb.30:                               ;   in Loop: Header=BB1_29 Depth=1
	v_and_b32_e32 v5, s2, v10
	v_and_b32_e32 v4, s3, v11
	v_bcnt_u32_b32 v5, v5, 0
	v_bcnt_u32_b32 v4, v4, v5
	v_add_u32_e32 v4, v18, v4
	ds_write_b8 v4, v17
.LBB1_31:                               ;   in Loop: Header=BB1_29 Depth=1
	s_or_b64 exec, exec, s[10:11]
	s_load_dwordx2 s[10:11], s[0:1], 0x0
	s_bcnt1_i32_b64 s19, s[2:3]
	s_waitcnt lgkmcnt(0)
	s_bfe_u32 s9, s10, 0x2000f
	s_cmp_lt_i32 s9, 1
	s_cbranch_scc1 .LBB1_34
; %bb.32:                               ;   in Loop: Header=BB1_29 Depth=1
	s_cmp_lg_u32 s9, 1
	s_cbranch_scc0 .LBB1_35
; %bb.33:                               ;   in Loop: Header=BB1_29 Depth=1
	s_mov_b32 s21, 20
	v_mul_u32_u24_e64 v4, s19, 20
	s_movk_i32 s20, 0x140
	s_cbranch_execz .LBB1_36
	s_branch .LBB1_37
.LBB1_34:                               ;   in Loop: Header=BB1_29 Depth=1
                                        ; implicit-def: $vgpr4
                                        ; implicit-def: $sgpr20
                                        ; implicit-def: $sgpr21
	s_branch .LBB1_38
.LBB1_35:                               ;   in Loop: Header=BB1_29 Depth=1
                                        ; implicit-def: $vgpr4
                                        ; implicit-def: $sgpr20
                                        ; implicit-def: $sgpr21
.LBB1_36:                               ;   in Loop: Header=BB1_29 Depth=1
	s_lshl_b32 s0, s19, 3
	s_mov_b32 s21, 8
	s_movk_i32 s20, 0x80
	v_mov_b32_e32 v4, s0
.LBB1_37:                               ;   in Loop: Header=BB1_29 Depth=1
	s_cbranch_execnz .LBB1_39
.LBB1_38:                               ;   in Loop: Header=BB1_29 Depth=1
	s_lshl_b32 s0, s19, 2
	s_mov_b32 s20, 64
	s_mov_b32 s21, 4
	v_mov_b32_e32 v4, s0
.LBB1_39:                               ;   in Loop: Header=BB1_29 Depth=1
	v_cmp_eq_u32_e64 s[0:1], 0, v19
	s_and_saveexec_b64 s[2:3], s[0:1]
	s_cbranch_execz .LBB1_41
; %bb.40:                               ;   in Loop: Header=BB1_29 Depth=1
	v_mov_b32_e32 v5, s20
	ds_write_b32 v13, v5 offset:17008
	s_or_b64 exec, exec, s[2:3]
	v_cmp_lt_i32_e32 vcc, v19, v4
	s_and_saveexec_b64 s[12:13], vcc
	s_cbranch_execz .LBB1_49
	s_branch .LBB1_42
.LBB1_41:                               ;   in Loop: Header=BB1_29 Depth=1
	s_or_b64 exec, exec, s[2:3]
	v_cmp_lt_i32_e32 vcc, v19, v4
	s_and_saveexec_b64 s[12:13], vcc
	s_cbranch_execz .LBB1_49
.LBB1_42:                               ;   in Loop: Header=BB1_29 Depth=1
	v_cvt_f32_u32_e32 v4, s21
	s_sub_i32 s2, 0, s21
	v_sub_u32_e32 v6, 0, v19
	v_max_i32_e32 v6, v19, v6
	v_rcp_iflag_f32_e32 v4, v4
	v_ashrrev_i32_e32 v5, 31, v19
	v_mul_f32_e32 v4, 0x4f7ffffe, v4
	v_cvt_u32_f32_e32 v4, v4
	v_mul_lo_u32 v7, s2, v4
	v_mul_hi_u32 v7, v4, v7
	v_add_u32_e32 v4, v4, v7
	v_mul_hi_u32 v4, v6, v4
	v_mul_lo_u32 v7, v4, s21
	v_sub_u32_e32 v6, v6, v7
	v_add_u32_e32 v12, 1, v4
	v_cmp_le_u32_e32 vcc, s21, v6
	v_subrev_u32_e32 v7, s21, v6
	s_nop 0
	v_cndmask_b32_e32 v4, v4, v12, vcc
	v_cndmask_b32_e32 v6, v6, v7, vcc
	v_add_u32_e32 v7, 1, v4
	v_cmp_le_u32_e32 vcc, s21, v6
	s_nop 1
	v_cndmask_b32_e32 v4, v4, v7, vcc
	v_xor_b32_e32 v4, v4, v5
	v_sub_u32_e32 v20, v4, v5
	ds_read_u8 v5, v13 offset:16472
	v_add_u32_e32 v4, v18, v20
	ds_read_u8 v4, v4
	v_mul_lo_u32 v6, v20, s21
	v_sub_u32_e32 v21, v19, v6
	s_waitcnt lgkmcnt(1)
	v_cmp_ne_u16_e64 s[2:3], 0, v5
	s_and_b64 vcc, exec, s[2:3]
	s_cbranch_vccz .LBB1_45
; %bb.43:                               ;   in Loop: Header=BB1_29 Depth=1
	s_and_b64 vcc, exec, s[2:3]
	s_cbranch_vccz .LBB1_46
.LBB1_44:                               ;   in Loop: Header=BB1_29 Depth=1
	ds_read_b32 v5, v13 offset:16476
	ds_read_b64 v[6:7], v13 offset:16480
	s_waitcnt lgkmcnt(2)
	v_mul_u32_u24_e32 v4, s20, v4
	v_lshlrev_b32_e32 v14, 4, v21
	v_add3_u32 v4, v14, s11, v4
	s_waitcnt lgkmcnt(1)
	v_and_b32_e32 v12, v5, v4
	s_waitcnt lgkmcnt(0)
	v_lshl_add_u64 v[4:5], v[6:7], 0, v[12:13]
	flat_load_dwordx4 v[4:7], v[4:5]
	s_cbranch_execz .LBB1_47
	s_branch .LBB1_48
.LBB1_45:                               ;   in Loop: Header=BB1_29 Depth=1
	s_waitcnt lgkmcnt(0)
	v_mul_u32_u24_e32 v0, s20, v4
	v_lshlrev_b32_e32 v1, 4, v21
	v_add3_u32 v0, v1, s11, v0
	global_load_dwordx4 v[0:3], v0, s[36:37]
	s_and_b64 vcc, exec, s[2:3]
	s_cbranch_vccnz .LBB1_44
.LBB1_46:                               ;   in Loop: Header=BB1_29 Depth=1
                                        ; implicit-def: $vgpr4_vgpr5_vgpr6_vgpr7
                                        ; implicit-def: $vgpr14
.LBB1_47:                               ;   in Loop: Header=BB1_29 Depth=1
	s_waitcnt vmcnt(0) lgkmcnt(0)
	v_mov_b64_e32 v[6:7], v[2:3]
	v_lshlrev_b32_e32 v14, 4, v21
	v_mov_b64_e32 v[4:5], v[0:1]
.LBB1_48:                               ;   in Loop: Header=BB1_29 Depth=1
	s_waitcnt vmcnt(0)
	v_add_u32_e32 v0, s18, v20
	v_mad_u64_u32 v[0:1], s[2:3], v0, s20, v[14:15]
	s_waitcnt lgkmcnt(0)
	ds_write_b128 v0, v[4:7] offset:18704
	v_mov_b64_e32 v[0:1], v[4:5]
	v_mov_b64_e32 v[2:3], v[6:7]
.LBB1_49:                               ;   in Loop: Header=BB1_29 Depth=1
	s_or_b64 exec, exec, s[12:13]
	s_bitcmp0_b32 s10, 14
	s_cselect_b64 s[2:3], -1, 0
	s_and_b64 vcc, exec, s[2:3]
	s_cbranch_vccnz .LBB1_51
; %bb.50:                               ;   in Loop: Header=BB1_29 Depth=1
	v_mov_b32_e32 v4, s14
	v_cmp_gt_i32_e32 vcc, 64, v19
	s_and_b32 s11, s10, 0x3fff
	s_add_i32 s11, s11, s8
	v_cndmask_b32_e32 v4, 0, v4, vcc
	v_add3_u32 v4, v19, v4, s15
	s_add_i32 s18, s18, s19
	s_cbranch_execnz .LBB1_28
	s_branch .LBB1_52
.LBB1_51:                               ;   in Loop: Header=BB1_29 Depth=1
                                        ; implicit-def: $vgpr4
                                        ; implicit-def: $sgpr11
	s_add_i32 s18, s18, s19
.LBB1_52:                               ;   in Loop: Header=BB1_29 Depth=1
	s_and_saveexec_b64 s[12:13], s[0:1]
	s_cbranch_execz .LBB1_27
; %bb.53:                               ;   in Loop: Header=BB1_29 Depth=1
	s_and_b32 s0, s10, 0x3fff
	s_add_i32 s1, s0, s8
	s_cmp_lg_u32 s0, 0
	s_cselect_b32 s0, s1, -1
	v_mov_b32_e32 v4, s8
	v_mov_b32_e32 v5, s0
	ds_write_b64 v13, v[4:5] offset:16992
	v_mov_b32_e32 v4, s9
	ds_write_b8 v13, v4 offset:17000
	v_mov_b32_e32 v4, s18
	s_lshr_b32 s0, s10, 17
	ds_write_b32 v13, v4 offset:17004
	v_mov_b32_e32 v4, s0
	v_mov_b32_e32 v19, 0
	ds_write_b16 v13, v4 offset:17002
	s_branch .LBB1_27
.LBB1_54:
	s_andn2_saveexec_b64 s[2:3], s[4:5]
	s_cbranch_execz .LBB1_67
.LBB1_55:
	v_cmp_gt_u32_e32 vcc, 6, v15
	s_mov_b64 s[6:7], s[0:1]
                                        ; implicit-def: $vgpr0_vgpr1
                                        ; implicit-def: $vgpr2
	s_and_saveexec_b64 s[4:5], vcc
	s_cbranch_execz .LBB1_57
; %bb.56:
	v_mov_b32_e32 v1, 0
	ds_read_b64 v[4:5], v1 offset:16448
	v_lshlrev_b32_e32 v0, 4, v15
	v_add_u32_e32 v2, 0x4080, v0
	s_or_b64 s[6:7], s[0:1], exec
	s_waitcnt lgkmcnt(0)
	v_lshl_add_u64 v[0:1], v[4:5], 0, v[0:1]
.LBB1_57:
	s_or_b64 exec, exec, s[4:5]
	s_andn2_b64 s[0:1], s[0:1], exec
	s_and_b64 s[4:5], s[6:7], exec
	s_or_b64 s[0:1], s[0:1], s[4:5]
	s_or_b64 exec, exec, s[2:3]
	s_and_saveexec_b64 s[2:3], s[0:1]
	s_cbranch_execnz .LBB1_68
	s_branch .LBB1_69
.LBB1_58:
	s_or_b64 exec, exec, s[6:7]
	v_mov_b32_e32 v4, s10
	s_and_saveexec_b64 s[6:7], s[8:9]
	s_cbranch_execz .LBB1_19
.LBB1_59:
	s_load_dwordx2 s[12:13], s[36:37], 0x10
	s_mov_b64 s[8:9], 0
                                        ; implicit-def: $sgpr15
	s_waitcnt lgkmcnt(0)
	v_and_b32_e32 v3, s13, v3
	v_and_b32_e32 v2, s12, v2
	v_cmp_ne_u64_e32 vcc, 0, v[2:3]
	s_and_saveexec_b64 s[10:11], vcc
	s_xor_b64 s[10:11], exec, s[10:11]
; %bb.60:
	v_and_b32_e32 v0, s12, v0
	v_and_b32_e32 v1, s13, v1
	v_bcnt_u32_b32 v0, v0, 0
	s_bcnt1_i32_b64 s15, s[4:5]
	v_bcnt_u32_b32 v0, v1, v0
	v_add_u32_e32 v0, s15, v0
	v_cmp_eq_u32_e32 vcc, s45, v0
	s_and_b64 s[8:9], vcc, exec
; %bb.61:
	s_or_b64 exec, exec, s[10:11]
	s_andn2_b64 s[2:3], s[2:3], exec
	s_and_b64 s[4:5], s[8:9], exec
	v_mov_b32_e32 v4, s15
	s_or_b64 s[2:3], s[2:3], s[4:5]
	s_or_b64 exec, exec, s[6:7]
	s_and_saveexec_b64 s[4:5], s[2:3]
	s_cbranch_execnz .LBB1_20
	s_branch .LBB1_21
.LBB1_62:
	s_or_saveexec_b64 s[0:1], s[6:7]
	s_mov_b64 s[2:3], 0
                                        ; implicit-def: $vgpr0_vgpr1
                                        ; implicit-def: $vgpr2
	s_xor_b64 exec, exec, s[0:1]
	s_cbranch_execz .LBB1_66
; %bb.63:
	s_movk_i32 s2, 0x58
	v_cmp_gt_u32_e32 vcc, s2, v15
	s_mov_b64 s[2:3], 0
                                        ; implicit-def: $vgpr0_vgpr1
                                        ; implicit-def: $vgpr2
	s_and_saveexec_b64 s[6:7], vcc
	s_xor_b64 s[6:7], exec, s[6:7]
	s_cbranch_execz .LBB1_65
; %bb.64:
	v_mov_b32_e32 v0, 0
	ds_read_b32 v2, v0 offset:16496
	ds_read_b64 v[0:1], v0 offset:16448
	s_movk_i32 s8, 0x180
	v_lshlrev_b32_e32 v4, 4, v15
	s_mov_b64 s[2:3], exec
	s_waitcnt lgkmcnt(1)
	v_mul_hi_i32 v3, v2, s8
	v_mul_lo_u32 v2, v2, s8
	s_waitcnt lgkmcnt(0)
	v_lshl_add_u64 v[0:1], v[0:1], 0, v[2:3]
	s_mov_b64 s[8:9], 0x60
	v_add_u32_e32 v2, 0xfffffc00, v4
	v_lshl_add_u64 v[0:1], v[0:1], 0, s[8:9]
	v_ashrrev_i32_e32 v3, 31, v2
	v_lshl_add_u64 v[0:1], v[0:1], 0, v[2:3]
	v_add_u32_e32 v2, 0x3ce0, v4
.LBB1_65:
	s_or_b64 exec, exec, s[6:7]
	s_and_b64 s[2:3], s[2:3], exec
.LBB1_66:
	s_or_b64 exec, exec, s[0:1]
	s_and_b64 s[0:1], s[2:3], exec
	s_andn2_saveexec_b64 s[2:3], s[4:5]
	s_cbranch_execnz .LBB1_55
.LBB1_67:
	s_or_b64 exec, exec, s[2:3]
	s_and_saveexec_b64 s[2:3], s[0:1]
	s_cbranch_execz .LBB1_69
.LBB1_68:
	flat_load_dwordx2 v[4:5], v[0:1]
	s_waitcnt vmcnt(0) lgkmcnt(0)
	ds_write_b64 v2, v[4:5]
	flat_load_dwordx2 v[0:1], v[0:1] offset:8
	s_waitcnt vmcnt(0) lgkmcnt(0)
	ds_write_b64 v2, v[0:1] offset:8
.LBB1_69:
	s_or_b64 exec, exec, s[2:3]
	v_mov_b32_e32 v43, 0
	s_waitcnt lgkmcnt(0)
	s_barrier
	ds_read_b32 v0, v43 offset:16500
	s_waitcnt lgkmcnt(0)
	v_cmp_ne_u32_e32 vcc, 0, v0
	s_cbranch_vccz .LBB1_82
.LBB1_70:
	s_and_saveexec_b64 s[0:1], s[40:41]
	s_cbranch_execz .LBB1_81
; %bb.71:
	v_mov_b32_e32 v5, 0
	ds_read_b64 v[2:3], v5 offset:16976
	ds_read_b32 v6, v5 offset:17004
	s_waitcnt lgkmcnt(0)
	v_lshl_add_u64 v[0:1], v[2:3], 0, 1
	v_ashrrev_i32_e32 v7, 31, v6
	v_lshl_add_u64 v[8:9], v[2:3], 0, v[6:7]
	v_cmp_gt_u64_e32 vcc, v[0:1], v[8:9]
	s_cbranch_vccnz .LBB1_80
; %bb.72:
	ds_read_u8 v10, v5 offset:17000
	s_movk_i32 s2, 0x494e
	s_movk_i32 s3, 0x491a
	s_branch .LBB1_74
.LBB1_73:                               ;   in Loop: Header=BB1_74 Depth=1
	s_waitcnt lgkmcnt(0)
	v_ashrrev_i32_e32 v7, 31, v6
	v_lshl_add_u64 v[0:1], v[0:1], 0, 1
	v_lshl_add_u64 v[8:9], v[2:3], 0, v[6:7]
	v_cmp_le_u64_e32 vcc, v[0:1], v[8:9]
	s_add_i32 s2, s2, 64
	s_addk_i32 s3, 0x80
	s_cbranch_vccz .LBB1_80
.LBB1_74:                               ; =>This Inner Loop Header: Depth=1
	s_waitcnt lgkmcnt(0)
	v_cmp_ne_u16_sdwa s[0:1], v10, v5 src0_sel:BYTE_0 src1_sel:DWORD
	s_and_b64 vcc, exec, s[0:1]
	s_cbranch_vccz .LBB1_79
; %bb.75:                               ;   in Loop: Header=BB1_74 Depth=1
	v_mov_b32_e32 v4, s3
	ds_read_u8 v4, v4
	s_waitcnt lgkmcnt(0)
	v_and_b32_e32 v4, 1, v4
	s_cbranch_execnz .LBB1_77
.LBB1_76:                               ;   in Loop: Header=BB1_74 Depth=1
	v_mov_b32_e32 v4, s2
	ds_read_u16 v4, v4
	s_waitcnt lgkmcnt(0)
	v_bfe_u32 v4, v4, 6, 1
.LBB1_77:                               ;   in Loop: Header=BB1_74 Depth=1
	v_cmp_eq_u32_e32 vcc, 0, v4
	s_cbranch_vccnz .LBB1_73
; %bb.78:                               ;   in Loop: Header=BB1_74 Depth=1
	s_memrealtime s[0:1]
	ds_read_u8 v10, v5 offset:17000
	ds_read_b32 v2, v5 offset:16496
	ds_read_b64 v[6:7], v5 offset:16600
	v_and_b32_e32 v4, 63, v0
	v_lshlrev_b32_e32 v4, 4, v4
	s_waitcnt lgkmcnt(0)
	v_ashrrev_i32_e32 v3, 31, v2
	v_lshlrev_b64 v[2:3], 10, v[2:3]
	v_lshl_add_u64 v[2:3], v[6:7], 0, v[2:3]
	v_lshl_add_u64 v[6:7], v[2:3], 0, v[4:5]
	v_mov_b32_e32 v2, s0
	v_mov_b32_e32 v3, s1
	flat_store_dwordx4 v[6:7], v[0:3]
	ds_read_b64 v[2:3], v5 offset:16976
	ds_read_b32 v6, v5 offset:17004
	s_branch .LBB1_73
.LBB1_79:                               ;   in Loop: Header=BB1_74 Depth=1
                                        ; implicit-def: $vgpr4
	s_branch .LBB1_76
.LBB1_80:
	v_mov_b32_e32 v2, 0
	ds_read_b32 v4, v2 offset:16496
	ds_read_b64 v[0:1], v2 offset:16448
	s_movk_i32 s0, 0x180
	ds_write_b64 v2, v[8:9] offset:16976
	s_waitcnt lgkmcnt(0)
	v_mul_hi_i32 v3, v4, s0
	v_mul_lo_u32 v2, v4, s0
	v_lshl_add_u64 v[0:1], v[0:1], 0, v[2:3]
	flat_store_dwordx2 v[0:1], v[8:9] offset:464
.LBB1_81:
	s_endpgm
.LBB1_82:
	s_movk_i32 s0, 0x44
	v_cmp_eq_u32_e32 vcc, 1, v16
	v_cmp_gt_u32_e64 s[0:1], s0, v15
	s_and_b64 s[46:47], s[0:1], vcc
	s_movk_i32 s0, 0x160
	v_mov_b32_e32 v0, 0xffffeb98
	v_lshlrev_b64 v[44:45], v15, 1
	s_add_u32 s51, s36, 48
	v_cmp_eq_u32_e64 s[42:43], 64, v15
	v_mad_u32_u24 v41, v15, s0, v0
	v_and_b32_e32 v56, 63, v15
	v_mul_u32_u24_e32 v57, 0x1010, v16
	v_lshl_add_u64 v[46:47], v[44:45], 0, -1
	s_addc_u32 s52, s37, 0
	s_movk_i32 s53, 0x58
	s_movk_i32 s54, 0xffc0
	v_mov_b32_e32 v58, 0xb1
	v_mov_b32_e32 v59, 0xb0
	;; [unrolled: 1-line block ×20, first 2 shown]
	s_branch .LBB1_84
.LBB1_83:                               ;   in Loop: Header=BB1_84 Depth=1
	s_waitcnt lgkmcnt(0)
	s_barrier
	ds_read_b32 v0, v43 offset:16500
	s_waitcnt lgkmcnt(0)
	v_readfirstlane_b32 s0, v0
	s_cmp_lg_u32 s0, 0
	s_cselect_b64 s[0:1], -1, 0
	s_and_b64 vcc, exec, s[0:1]
	s_cbranch_vccnz .LBB1_70
.LBB1_84:                               ; =>This Loop Header: Depth=1
                                        ;     Child Loop BB1_88 Depth 2
                                        ;     Child Loop BB1_743 Depth 2
	;; [unrolled: 1-line block ×3, first 2 shown]
	s_and_saveexec_b64 s[0:1], s[40:41]
	s_cbranch_execz .LBB1_94
; %bb.85:                               ;   in Loop: Header=BB1_84 Depth=1
	ds_read_b64 v[2:3], v43 offset:16976
	ds_read_b32 v4, v43 offset:17004
	s_waitcnt lgkmcnt(0)
	v_lshl_add_u64 v[0:1], v[2:3], 0, 1
	s_waitcnt lgkmcnt(0)
	v_ashrrev_i32_e32 v5, 31, v4
	v_lshl_add_u64 v[6:7], v[2:3], 0, v[4:5]
	v_cmp_gt_u64_e32 vcc, v[0:1], v[6:7]
	s_cbranch_vccnz .LBB1_94
; %bb.86:                               ;   in Loop: Header=BB1_84 Depth=1
	ds_read_u8 v6, v43 offset:17000
	s_movk_i32 s4, 0x494e
	s_movk_i32 s5, 0x491a
	s_branch .LBB1_88
.LBB1_87:                               ;   in Loop: Header=BB1_88 Depth=2
	s_waitcnt lgkmcnt(0)
	v_ashrrev_i32_e32 v5, 31, v4
	v_lshl_add_u64 v[0:1], v[0:1], 0, 1
	v_lshl_add_u64 v[8:9], v[2:3], 0, v[4:5]
	v_cmp_le_u64_e32 vcc, v[0:1], v[8:9]
	s_add_i32 s4, s4, 64
	s_addk_i32 s5, 0x80
	s_cbranch_vccz .LBB1_94
.LBB1_88:                               ;   Parent Loop BB1_84 Depth=1
                                        ; =>  This Inner Loop Header: Depth=2
	s_waitcnt lgkmcnt(0)
	v_cmp_ne_u16_sdwa s[2:3], v6, v43 src0_sel:BYTE_0 src1_sel:DWORD
	s_and_b64 vcc, exec, s[2:3]
	s_cbranch_vccz .LBB1_93
; %bb.89:                               ;   in Loop: Header=BB1_88 Depth=2
	v_mov_b32_e32 v5, s5
	ds_read_u8 v5, v5
	s_waitcnt lgkmcnt(0)
	v_and_b32_e32 v5, 1, v5
	s_cbranch_execnz .LBB1_91
.LBB1_90:                               ;   in Loop: Header=BB1_88 Depth=2
	v_mov_b32_e32 v5, s4
	ds_read_u16 v5, v5
	s_waitcnt lgkmcnt(0)
	v_bfe_u32 v5, v5, 6, 1
.LBB1_91:                               ;   in Loop: Header=BB1_88 Depth=2
	v_cmp_eq_u32_e32 vcc, 0, v5
	s_cbranch_vccnz .LBB1_87
; %bb.92:                               ;   in Loop: Header=BB1_88 Depth=2
	s_memrealtime s[2:3]
	ds_read_u8 v6, v43 offset:17000
	ds_read_b32 v2, v43 offset:16496
	ds_read_b64 v[4:5], v43 offset:16592
	v_and_b32_e32 v7, 63, v0
	v_lshlrev_b32_e32 v42, 4, v7
	s_waitcnt lgkmcnt(0)
	v_ashrrev_i32_e32 v3, 31, v2
	v_lshlrev_b64 v[2:3], 10, v[2:3]
	v_lshl_add_u64 v[2:3], v[4:5], 0, v[2:3]
	v_lshl_add_u64 v[4:5], v[2:3], 0, v[42:43]
	v_mov_b32_e32 v2, s2
	v_mov_b32_e32 v3, s3
	flat_store_dwordx4 v[4:5], v[0:3]
	ds_read_b64 v[2:3], v43 offset:16976
	ds_read_b32 v4, v43 offset:17004
	s_branch .LBB1_87
.LBB1_93:                               ;   in Loop: Header=BB1_88 Depth=2
                                        ; implicit-def: $vgpr5
	s_branch .LBB1_90
.LBB1_94:                               ;   in Loop: Header=BB1_84 Depth=1
	s_or_b64 exec, exec, s[0:1]
	ds_read_u16 v0, v43 offset:17002
	s_mov_b64 s[0:1], -1
	s_waitcnt lgkmcnt(0)
	v_cmp_lt_u32_e32 vcc, s53, v0
	v_readfirstlane_b32 s55, v0
	s_cbranch_vccz .LBB1_423
; %bb.95:                               ;   in Loop: Header=BB1_84 Depth=1
	s_cmpk_gt_u32 s55, 0x85
	s_cbranch_scc0 .LBB1_260
; %bb.96:                               ;   in Loop: Header=BB1_84 Depth=1
	s_cmpk_gt_u32 s55, 0x9b
	s_cbranch_scc0 .LBB1_181
	;; [unrolled: 3-line block ×5, first 2 shown]
; %bb.100:                              ;   in Loop: Header=BB1_84 Depth=1
	v_cmp_lt_i16_e32 vcc, s55, v58
	s_mov_b64 s[2:3], -1
	s_mov_b64 s[48:49], 0
	s_mov_b64 s[0:1], 0
	s_cbranch_vccnz .LBB1_106
; %bb.101:                              ;   in Loop: Header=BB1_84 Depth=1
	v_cmp_eq_u16_e32 vcc, s55, v58
	s_mov_b64 s[0:1], -1
	s_cbranch_vccz .LBB1_103
; %bb.102:                              ;   in Loop: Header=BB1_84 Depth=1
	s_add_u32 s8, s36, 0x1000
	s_addc_u32 s9, s37, 0
	s_mov_b64 s[4:5], s[38:39]
	s_mov_b64 s[10:11], s[34:35]
	s_mov_b32 s12, s45
	s_mov_b32 s13, s44
	;; [unrolled: 1-line block ×3, first 2 shown]
	v_mov_b32_e32 v31, v40
	s_getpc_b64 s[0:1]
	s_add_u32 s0, s0, _Z45ncclDevFunc_SendRecv_RING_SIMPLE_Sum_i8_0_0_2v@rel32@lo+4
	s_addc_u32 s1, s1, _Z45ncclDevFunc_SendRecv_RING_SIMPLE_Sum_i8_0_0_2v@rel32@hi+12
	s_swappc_b64 s[30:31], s[0:1]
	s_mov_b64 s[0:1], 0
.LBB1_103:                              ;   in Loop: Header=BB1_84 Depth=1
.LBB1_104:                              ;   in Loop: Header=BB1_84 Depth=1
	s_andn2_b64 vcc, exec, s[0:1]
	s_cbranch_vccnz .LBB1_108
.LBB1_105:                              ;   in Loop: Header=BB1_84 Depth=1
	s_add_u32 s8, s36, 0x1000
	s_addc_u32 s9, s37, 0
	s_mov_b64 s[4:5], s[38:39]
	s_mov_b64 s[10:11], s[34:35]
	s_mov_b32 s12, s45
	s_mov_b32 s13, s44
	;; [unrolled: 1-line block ×3, first 2 shown]
	v_mov_b32_e32 v31, v40
	s_getpc_b64 s[0:1]
	s_add_u32 s0, s0, _Z50ncclDevFunc_AlltoAllPivot_RING_SIMPLE_Sum_i8_0_0_2v@rel32@lo+4
	s_addc_u32 s1, s1, _Z50ncclDevFunc_AlltoAllPivot_RING_SIMPLE_Sum_i8_0_0_2v@rel32@hi+12
	s_swappc_b64 s[30:31], s[0:1]
	s_cbranch_execz .LBB1_109
	s_branch .LBB1_110
.LBB1_106:                              ;   in Loop: Header=BB1_84 Depth=1
	s_and_b64 vcc, exec, s[2:3]
	s_cbranch_vccz .LBB1_104
; %bb.107:                              ;   in Loop: Header=BB1_84 Depth=1
	v_cmp_ne_u16_e64 s[0:1], s55, v59
	s_mov_b64 s[48:49], -1
	s_andn2_b64 vcc, exec, s[0:1]
	s_cbranch_vccz .LBB1_105
.LBB1_108:                              ;   in Loop: Header=BB1_84 Depth=1
	s_andn2_b64 vcc, exec, s[48:49]
	s_cbranch_vccnz .LBB1_110
.LBB1_109:                              ;   in Loop: Header=BB1_84 Depth=1
	s_add_u32 s8, s36, 0x1000
	s_addc_u32 s9, s37, 0
	s_mov_b64 s[4:5], s[38:39]
	s_mov_b64 s[10:11], s[34:35]
	s_mov_b32 s12, s45
	s_mov_b32 s13, s44
	;; [unrolled: 1-line block ×3, first 2 shown]
	v_mov_b32_e32 v31, v40
	s_getpc_b64 s[0:1]
	s_add_u32 s0, s0, _Z54ncclDevFunc_AllReduce_RING_SIMPLE_SumPostDiv_u64_1_0_2v@rel32@lo+4
	s_addc_u32 s1, s1, _Z54ncclDevFunc_AllReduce_RING_SIMPLE_SumPostDiv_u64_1_0_2v@rel32@hi+12
	s_swappc_b64 s[30:31], s[0:1]
.LBB1_110:                              ;   in Loop: Header=BB1_84 Depth=1
	s_mov_b64 s[0:1], 0
.LBB1_111:                              ;   in Loop: Header=BB1_84 Depth=1
	s_and_b64 vcc, exec, s[0:1]
	s_cbranch_vccz .LBB1_120
; %bb.112:                              ;   in Loop: Header=BB1_84 Depth=1
	v_mov_b32_e32 v0, 0xae
	v_cmp_lt_i16_sdwa s[2:3], s55, v0 src0_sel:BYTE_0 src1_sel:DWORD
	s_mov_b64 s[0:1], -1
	s_and_b64 vcc, exec, s[2:3]
	s_cbranch_vccnz .LBB1_118
; %bb.113:                              ;   in Loop: Header=BB1_84 Depth=1
	v_cmp_ne_u16_sdwa s[2:3], s55, v0 src0_sel:BYTE_0 src1_sel:DWORD
	s_and_b64 vcc, exec, s[2:3]
	s_cbranch_vccz .LBB1_115
; %bb.114:                              ;   in Loop: Header=BB1_84 Depth=1
	s_add_u32 s8, s36, 0x1000
	s_addc_u32 s9, s37, 0
	s_mov_b64 s[4:5], s[38:39]
	s_mov_b64 s[10:11], s[34:35]
	s_mov_b32 s12, s45
	s_mov_b32 s13, s44
	;; [unrolled: 1-line block ×3, first 2 shown]
	v_mov_b32_e32 v31, v40
	s_getpc_b64 s[0:1]
	s_add_u32 s0, s0, _Z54ncclDevFunc_AllReduce_RING_SIMPLE_SumPostDiv_u64_0_0_2v@rel32@lo+4
	s_addc_u32 s1, s1, _Z54ncclDevFunc_AllReduce_RING_SIMPLE_SumPostDiv_u64_0_0_2v@rel32@hi+12
	s_swappc_b64 s[30:31], s[0:1]
	s_mov_b64 s[0:1], 0
.LBB1_115:                              ;   in Loop: Header=BB1_84 Depth=1
	s_andn2_b64 vcc, exec, s[0:1]
	s_cbranch_vccnz .LBB1_117
; %bb.116:                              ;   in Loop: Header=BB1_84 Depth=1
	s_add_u32 s8, s36, 0x1000
	s_addc_u32 s9, s37, 0
	s_mov_b64 s[4:5], s[38:39]
	s_mov_b64 s[10:11], s[34:35]
	s_mov_b32 s12, s45
	s_mov_b32 s13, s44
	;; [unrolled: 1-line block ×3, first 2 shown]
	v_mov_b32_e32 v31, v40
	s_getpc_b64 s[0:1]
	s_add_u32 s0, s0, _Z54ncclDevFunc_AllReduce_RING_SIMPLE_SumPostDiv_u32_1_0_2v@rel32@lo+4
	s_addc_u32 s1, s1, _Z54ncclDevFunc_AllReduce_RING_SIMPLE_SumPostDiv_u32_1_0_2v@rel32@hi+12
	s_swappc_b64 s[30:31], s[0:1]
.LBB1_117:                              ;   in Loop: Header=BB1_84 Depth=1
	s_mov_b64 s[0:1], 0
.LBB1_118:                              ;   in Loop: Header=BB1_84 Depth=1
	s_andn2_b64 vcc, exec, s[0:1]
	s_cbranch_vccnz .LBB1_120
; %bb.119:                              ;   in Loop: Header=BB1_84 Depth=1
	s_add_u32 s8, s36, 0x1000
	s_addc_u32 s9, s37, 0
	s_mov_b64 s[4:5], s[38:39]
	s_mov_b64 s[10:11], s[34:35]
	s_mov_b32 s12, s45
	s_mov_b32 s13, s44
	;; [unrolled: 1-line block ×3, first 2 shown]
	v_mov_b32_e32 v31, v40
	s_getpc_b64 s[0:1]
	s_add_u32 s0, s0, _Z54ncclDevFunc_AllReduce_RING_SIMPLE_SumPostDiv_u32_0_0_2v@rel32@lo+4
	s_addc_u32 s1, s1, _Z54ncclDevFunc_AllReduce_RING_SIMPLE_SumPostDiv_u32_0_0_2v@rel32@hi+12
	s_swappc_b64 s[30:31], s[0:1]
.LBB1_120:                              ;   in Loop: Header=BB1_84 Depth=1
	s_mov_b64 s[0:1], 0
.LBB1_121:                              ;   in Loop: Header=BB1_84 Depth=1
	s_andn2_b64 vcc, exec, s[0:1]
	s_cbranch_vccnz .LBB1_141
; %bb.122:                              ;   in Loop: Header=BB1_84 Depth=1
	s_cmpk_gt_u32 s55, 0xa9
	s_mov_b64 s[0:1], -1
	s_cbranch_scc0 .LBB1_132
; %bb.123:                              ;   in Loop: Header=BB1_84 Depth=1
	v_mov_b32_e32 v0, 0xab
	v_cmp_lt_i16_sdwa s[2:3], s55, v0 src0_sel:BYTE_0 src1_sel:DWORD
	s_and_b64 vcc, exec, s[2:3]
	s_cbranch_vccnz .LBB1_129
; %bb.124:                              ;   in Loop: Header=BB1_84 Depth=1
	v_cmp_ne_u16_sdwa s[2:3], s55, v0 src0_sel:BYTE_0 src1_sel:DWORD
	s_and_b64 vcc, exec, s[2:3]
	s_cbranch_vccz .LBB1_126
; %bb.125:                              ;   in Loop: Header=BB1_84 Depth=1
	s_add_u32 s8, s36, 0x1000
	s_addc_u32 s9, s37, 0
	s_mov_b64 s[4:5], s[38:39]
	s_mov_b64 s[10:11], s[34:35]
	s_mov_b32 s12, s45
	s_mov_b32 s13, s44
	s_mov_b32 s14, s33
	v_mov_b32_e32 v31, v40
	s_getpc_b64 s[0:1]
	s_add_u32 s0, s0, _Z53ncclDevFunc_AllReduce_RING_SIMPLE_SumPostDiv_u8_1_0_2v@rel32@lo+4
	s_addc_u32 s1, s1, _Z53ncclDevFunc_AllReduce_RING_SIMPLE_SumPostDiv_u8_1_0_2v@rel32@hi+12
	s_swappc_b64 s[30:31], s[0:1]
	s_mov_b64 s[0:1], 0
.LBB1_126:                              ;   in Loop: Header=BB1_84 Depth=1
	s_andn2_b64 vcc, exec, s[0:1]
	s_cbranch_vccnz .LBB1_128
; %bb.127:                              ;   in Loop: Header=BB1_84 Depth=1
	s_add_u32 s8, s36, 0x1000
	s_addc_u32 s9, s37, 0
	s_mov_b64 s[4:5], s[38:39]
	s_mov_b64 s[10:11], s[34:35]
	s_mov_b32 s12, s45
	s_mov_b32 s13, s44
	;; [unrolled: 1-line block ×3, first 2 shown]
	v_mov_b32_e32 v31, v40
	s_getpc_b64 s[0:1]
	s_add_u32 s0, s0, _Z53ncclDevFunc_AllReduce_RING_SIMPLE_SumPostDiv_u8_0_0_2v@rel32@lo+4
	s_addc_u32 s1, s1, _Z53ncclDevFunc_AllReduce_RING_SIMPLE_SumPostDiv_u8_0_0_2v@rel32@hi+12
	s_swappc_b64 s[30:31], s[0:1]
.LBB1_128:                              ;   in Loop: Header=BB1_84 Depth=1
	s_mov_b64 s[0:1], 0
.LBB1_129:                              ;   in Loop: Header=BB1_84 Depth=1
	s_andn2_b64 vcc, exec, s[0:1]
	s_cbranch_vccnz .LBB1_131
; %bb.130:                              ;   in Loop: Header=BB1_84 Depth=1
	s_add_u32 s8, s36, 0x1000
	s_addc_u32 s9, s37, 0
	s_mov_b64 s[4:5], s[38:39]
	s_mov_b64 s[10:11], s[34:35]
	s_mov_b32 s12, s45
	s_mov_b32 s13, s44
	s_mov_b32 s14, s33
	v_mov_b32_e32 v31, v40
	s_getpc_b64 s[0:1]
	s_add_u32 s0, s0, _Z56ncclDevFunc_AllReduce_RING_SIMPLE_PreMulSum_f8e5m2_1_0_2v@rel32@lo+4
	s_addc_u32 s1, s1, _Z56ncclDevFunc_AllReduce_RING_SIMPLE_PreMulSum_f8e5m2_1_0_2v@rel32@hi+12
	s_swappc_b64 s[30:31], s[0:1]
.LBB1_131:                              ;   in Loop: Header=BB1_84 Depth=1
	s_mov_b64 s[0:1], 0
.LBB1_132:                              ;   in Loop: Header=BB1_84 Depth=1
	s_and_b64 vcc, exec, s[0:1]
	s_cbranch_vccz .LBB1_141
; %bb.133:                              ;   in Loop: Header=BB1_84 Depth=1
	v_mov_b32_e32 v0, 0xa8
	v_cmp_lt_i16_sdwa s[2:3], s55, v0 src0_sel:BYTE_0 src1_sel:DWORD
	s_mov_b64 s[0:1], -1
	s_and_b64 vcc, exec, s[2:3]
	s_cbranch_vccnz .LBB1_139
; %bb.134:                              ;   in Loop: Header=BB1_84 Depth=1
	v_cmp_ne_u16_sdwa s[2:3], s55, v0 src0_sel:BYTE_0 src1_sel:DWORD
	s_and_b64 vcc, exec, s[2:3]
	s_cbranch_vccz .LBB1_136
; %bb.135:                              ;   in Loop: Header=BB1_84 Depth=1
	s_add_u32 s8, s36, 0x1000
	s_addc_u32 s9, s37, 0
	s_mov_b64 s[4:5], s[38:39]
	s_mov_b64 s[10:11], s[34:35]
	s_mov_b32 s12, s45
	s_mov_b32 s13, s44
	;; [unrolled: 1-line block ×3, first 2 shown]
	v_mov_b32_e32 v31, v40
	s_getpc_b64 s[0:1]
	s_add_u32 s0, s0, _Z56ncclDevFunc_AllReduce_RING_SIMPLE_PreMulSum_f8e5m2_0_0_2v@rel32@lo+4
	s_addc_u32 s1, s1, _Z56ncclDevFunc_AllReduce_RING_SIMPLE_PreMulSum_f8e5m2_0_0_2v@rel32@hi+12
	s_swappc_b64 s[30:31], s[0:1]
	s_mov_b64 s[0:1], 0
.LBB1_136:                              ;   in Loop: Header=BB1_84 Depth=1
	s_andn2_b64 vcc, exec, s[0:1]
	s_cbranch_vccnz .LBB1_138
; %bb.137:                              ;   in Loop: Header=BB1_84 Depth=1
	s_add_u32 s8, s36, 0x1000
	s_addc_u32 s9, s37, 0
	s_mov_b64 s[4:5], s[38:39]
	s_mov_b64 s[10:11], s[34:35]
	s_mov_b32 s12, s45
	s_mov_b32 s13, s44
	;; [unrolled: 1-line block ×3, first 2 shown]
	v_mov_b32_e32 v31, v40
	s_getpc_b64 s[0:1]
	s_add_u32 s0, s0, _Z56ncclDevFunc_AllReduce_RING_SIMPLE_PreMulSum_f8e4m3_1_0_2v@rel32@lo+4
	s_addc_u32 s1, s1, _Z56ncclDevFunc_AllReduce_RING_SIMPLE_PreMulSum_f8e4m3_1_0_2v@rel32@hi+12
	s_swappc_b64 s[30:31], s[0:1]
.LBB1_138:                              ;   in Loop: Header=BB1_84 Depth=1
	s_mov_b64 s[0:1], 0
.LBB1_139:                              ;   in Loop: Header=BB1_84 Depth=1
	s_andn2_b64 vcc, exec, s[0:1]
	s_cbranch_vccnz .LBB1_141
; %bb.140:                              ;   in Loop: Header=BB1_84 Depth=1
	s_add_u32 s8, s36, 0x1000
	s_addc_u32 s9, s37, 0
	s_mov_b64 s[4:5], s[38:39]
	s_mov_b64 s[10:11], s[34:35]
	s_mov_b32 s12, s45
	s_mov_b32 s13, s44
	;; [unrolled: 1-line block ×3, first 2 shown]
	v_mov_b32_e32 v31, v40
	s_getpc_b64 s[0:1]
	s_add_u32 s0, s0, _Z56ncclDevFunc_AllReduce_RING_SIMPLE_PreMulSum_f8e4m3_0_0_2v@rel32@lo+4
	s_addc_u32 s1, s1, _Z56ncclDevFunc_AllReduce_RING_SIMPLE_PreMulSum_f8e4m3_0_0_2v@rel32@hi+12
	s_swappc_b64 s[30:31], s[0:1]
.LBB1_141:                              ;   in Loop: Header=BB1_84 Depth=1
	s_mov_b64 s[0:1], 0
.LBB1_142:                              ;   in Loop: Header=BB1_84 Depth=1
	s_andn2_b64 vcc, exec, s[0:1]
	s_cbranch_vccnz .LBB1_180
; %bb.143:                              ;   in Loop: Header=BB1_84 Depth=1
	s_cmpk_gt_u32 s55, 0xa0
	s_mov_b64 s[0:1], -1
	s_cbranch_scc0 .LBB1_164
; %bb.144:                              ;   in Loop: Header=BB1_84 Depth=1
	s_cmpk_gt_u32 s55, 0xa3
	s_cbranch_scc0 .LBB1_154
; %bb.145:                              ;   in Loop: Header=BB1_84 Depth=1
	v_mov_b32_e32 v0, 0xa5
	v_cmp_lt_i16_sdwa s[2:3], s55, v0 src0_sel:BYTE_0 src1_sel:DWORD
	s_and_b64 vcc, exec, s[2:3]
	s_cbranch_vccnz .LBB1_151
; %bb.146:                              ;   in Loop: Header=BB1_84 Depth=1
	v_cmp_ne_u16_sdwa s[2:3], s55, v0 src0_sel:BYTE_0 src1_sel:DWORD
	s_and_b64 vcc, exec, s[2:3]
	s_cbranch_vccz .LBB1_148
; %bb.147:                              ;   in Loop: Header=BB1_84 Depth=1
	s_add_u32 s8, s36, 0x1000
	s_addc_u32 s9, s37, 0
	s_mov_b64 s[4:5], s[38:39]
	s_mov_b64 s[10:11], s[34:35]
	s_mov_b32 s12, s45
	s_mov_b32 s13, s44
	;; [unrolled: 1-line block ×3, first 2 shown]
	v_mov_b32_e32 v31, v40
	s_getpc_b64 s[0:1]
	s_add_u32 s0, s0, _Z54ncclDevFunc_AllReduce_RING_SIMPLE_PreMulSum_bf16_1_1_2v@rel32@lo+4
	s_addc_u32 s1, s1, _Z54ncclDevFunc_AllReduce_RING_SIMPLE_PreMulSum_bf16_1_1_2v@rel32@hi+12
	s_swappc_b64 s[30:31], s[0:1]
	s_mov_b64 s[0:1], 0
.LBB1_148:                              ;   in Loop: Header=BB1_84 Depth=1
	s_andn2_b64 vcc, exec, s[0:1]
	s_cbranch_vccnz .LBB1_150
; %bb.149:                              ;   in Loop: Header=BB1_84 Depth=1
	s_add_u32 s8, s36, 0x1000
	s_addc_u32 s9, s37, 0
	s_mov_b64 s[4:5], s[38:39]
	s_mov_b64 s[10:11], s[34:35]
	s_mov_b32 s12, s45
	s_mov_b32 s13, s44
	;; [unrolled: 1-line block ×3, first 2 shown]
	v_mov_b32_e32 v31, v40
	s_getpc_b64 s[0:1]
	s_add_u32 s0, s0, _Z54ncclDevFunc_AllReduce_RING_SIMPLE_PreMulSum_bf16_1_0_2v@rel32@lo+4
	s_addc_u32 s1, s1, _Z54ncclDevFunc_AllReduce_RING_SIMPLE_PreMulSum_bf16_1_0_2v@rel32@hi+12
	s_swappc_b64 s[30:31], s[0:1]
.LBB1_150:                              ;   in Loop: Header=BB1_84 Depth=1
	s_mov_b64 s[0:1], 0
.LBB1_151:                              ;   in Loop: Header=BB1_84 Depth=1
	s_andn2_b64 vcc, exec, s[0:1]
	s_cbranch_vccnz .LBB1_153
; %bb.152:                              ;   in Loop: Header=BB1_84 Depth=1
	s_add_u32 s8, s36, 0x1000
	s_addc_u32 s9, s37, 0
	s_mov_b64 s[4:5], s[38:39]
	s_mov_b64 s[10:11], s[34:35]
	s_mov_b32 s12, s45
	s_mov_b32 s13, s44
	;; [unrolled: 1-line block ×3, first 2 shown]
	v_mov_b32_e32 v31, v40
	s_getpc_b64 s[0:1]
	s_add_u32 s0, s0, _Z54ncclDevFunc_AllReduce_RING_SIMPLE_PreMulSum_bf16_0_1_2v@rel32@lo+4
	s_addc_u32 s1, s1, _Z54ncclDevFunc_AllReduce_RING_SIMPLE_PreMulSum_bf16_0_1_2v@rel32@hi+12
	s_swappc_b64 s[30:31], s[0:1]
.LBB1_153:                              ;   in Loop: Header=BB1_84 Depth=1
	s_mov_b64 s[0:1], 0
.LBB1_154:                              ;   in Loop: Header=BB1_84 Depth=1
	s_and_b64 vcc, exec, s[0:1]
	s_cbranch_vccz .LBB1_163
; %bb.155:                              ;   in Loop: Header=BB1_84 Depth=1
	v_mov_b32_e32 v0, 0xa2
	v_cmp_lt_i16_sdwa s[2:3], s55, v0 src0_sel:BYTE_0 src1_sel:DWORD
	s_mov_b64 s[0:1], -1
	s_and_b64 vcc, exec, s[2:3]
	s_cbranch_vccnz .LBB1_161
; %bb.156:                              ;   in Loop: Header=BB1_84 Depth=1
	v_cmp_ne_u16_sdwa s[2:3], s55, v0 src0_sel:BYTE_0 src1_sel:DWORD
	s_and_b64 vcc, exec, s[2:3]
	s_cbranch_vccz .LBB1_158
; %bb.157:                              ;   in Loop: Header=BB1_84 Depth=1
	s_add_u32 s8, s36, 0x1000
	s_addc_u32 s9, s37, 0
	s_mov_b64 s[4:5], s[38:39]
	s_mov_b64 s[10:11], s[34:35]
	s_mov_b32 s12, s45
	s_mov_b32 s13, s44
	;; [unrolled: 1-line block ×3, first 2 shown]
	v_mov_b32_e32 v31, v40
	s_getpc_b64 s[0:1]
	s_add_u32 s0, s0, _Z54ncclDevFunc_AllReduce_RING_SIMPLE_PreMulSum_bf16_0_0_2v@rel32@lo+4
	s_addc_u32 s1, s1, _Z54ncclDevFunc_AllReduce_RING_SIMPLE_PreMulSum_bf16_0_0_2v@rel32@hi+12
	s_swappc_b64 s[30:31], s[0:1]
	s_mov_b64 s[0:1], 0
.LBB1_158:                              ;   in Loop: Header=BB1_84 Depth=1
	s_andn2_b64 vcc, exec, s[0:1]
	s_cbranch_vccnz .LBB1_160
; %bb.159:                              ;   in Loop: Header=BB1_84 Depth=1
	s_add_u32 s8, s36, 0x1000
	s_addc_u32 s9, s37, 0
	s_mov_b64 s[4:5], s[38:39]
	s_mov_b64 s[10:11], s[34:35]
	s_mov_b32 s12, s45
	s_mov_b32 s13, s44
	;; [unrolled: 1-line block ×3, first 2 shown]
	v_mov_b32_e32 v31, v40
	s_getpc_b64 s[0:1]
	s_add_u32 s0, s0, _Z53ncclDevFunc_AllReduce_RING_SIMPLE_PreMulSum_f64_1_0_2v@rel32@lo+4
	s_addc_u32 s1, s1, _Z53ncclDevFunc_AllReduce_RING_SIMPLE_PreMulSum_f64_1_0_2v@rel32@hi+12
	s_swappc_b64 s[30:31], s[0:1]
.LBB1_160:                              ;   in Loop: Header=BB1_84 Depth=1
	s_mov_b64 s[0:1], 0
.LBB1_161:                              ;   in Loop: Header=BB1_84 Depth=1
	s_andn2_b64 vcc, exec, s[0:1]
	s_cbranch_vccnz .LBB1_163
; %bb.162:                              ;   in Loop: Header=BB1_84 Depth=1
	s_add_u32 s8, s36, 0x1000
	s_addc_u32 s9, s37, 0
	s_mov_b64 s[4:5], s[38:39]
	s_mov_b64 s[10:11], s[34:35]
	s_mov_b32 s12, s45
	s_mov_b32 s13, s44
	;; [unrolled: 1-line block ×3, first 2 shown]
	v_mov_b32_e32 v31, v40
	s_getpc_b64 s[0:1]
	s_add_u32 s0, s0, _Z53ncclDevFunc_AllReduce_RING_SIMPLE_PreMulSum_f64_0_0_2v@rel32@lo+4
	s_addc_u32 s1, s1, _Z53ncclDevFunc_AllReduce_RING_SIMPLE_PreMulSum_f64_0_0_2v@rel32@hi+12
	s_swappc_b64 s[30:31], s[0:1]
.LBB1_163:                              ;   in Loop: Header=BB1_84 Depth=1
	s_mov_b64 s[0:1], 0
.LBB1_164:                              ;   in Loop: Header=BB1_84 Depth=1
	s_andn2_b64 vcc, exec, s[0:1]
	s_cbranch_vccnz .LBB1_180
; %bb.165:                              ;   in Loop: Header=BB1_84 Depth=1
	s_cmpk_gt_u32 s55, 0x9d
	s_mov_b64 s[0:1], -1
	s_cbranch_scc0 .LBB1_175
; %bb.166:                              ;   in Loop: Header=BB1_84 Depth=1
	v_mov_b32_e32 v0, 0x9f
	v_cmp_lt_i16_sdwa s[2:3], s55, v0 src0_sel:BYTE_0 src1_sel:DWORD
	s_and_b64 vcc, exec, s[2:3]
	s_cbranch_vccnz .LBB1_172
; %bb.167:                              ;   in Loop: Header=BB1_84 Depth=1
	v_cmp_ne_u16_sdwa s[2:3], s55, v0 src0_sel:BYTE_0 src1_sel:DWORD
	s_and_b64 vcc, exec, s[2:3]
	s_cbranch_vccz .LBB1_169
; %bb.168:                              ;   in Loop: Header=BB1_84 Depth=1
	s_add_u32 s8, s36, 0x1000
	s_addc_u32 s9, s37, 0
	s_mov_b64 s[4:5], s[38:39]
	s_mov_b64 s[10:11], s[34:35]
	s_mov_b32 s12, s45
	s_mov_b32 s13, s44
	;; [unrolled: 1-line block ×3, first 2 shown]
	v_mov_b32_e32 v31, v40
	s_getpc_b64 s[0:1]
	s_add_u32 s0, s0, _Z53ncclDevFunc_AllReduce_RING_SIMPLE_PreMulSum_f32_1_0_2v@rel32@lo+4
	s_addc_u32 s1, s1, _Z53ncclDevFunc_AllReduce_RING_SIMPLE_PreMulSum_f32_1_0_2v@rel32@hi+12
	s_swappc_b64 s[30:31], s[0:1]
	s_mov_b64 s[0:1], 0
.LBB1_169:                              ;   in Loop: Header=BB1_84 Depth=1
	s_andn2_b64 vcc, exec, s[0:1]
	s_cbranch_vccnz .LBB1_171
; %bb.170:                              ;   in Loop: Header=BB1_84 Depth=1
	s_add_u32 s8, s36, 0x1000
	s_addc_u32 s9, s37, 0
	s_mov_b64 s[4:5], s[38:39]
	s_mov_b64 s[10:11], s[34:35]
	s_mov_b32 s12, s45
	s_mov_b32 s13, s44
	;; [unrolled: 1-line block ×3, first 2 shown]
	v_mov_b32_e32 v31, v40
	s_getpc_b64 s[0:1]
	s_add_u32 s0, s0, _Z53ncclDevFunc_AllReduce_RING_SIMPLE_PreMulSum_f32_0_0_2v@rel32@lo+4
	s_addc_u32 s1, s1, _Z53ncclDevFunc_AllReduce_RING_SIMPLE_PreMulSum_f32_0_0_2v@rel32@hi+12
	s_swappc_b64 s[30:31], s[0:1]
.LBB1_171:                              ;   in Loop: Header=BB1_84 Depth=1
	s_mov_b64 s[0:1], 0
.LBB1_172:                              ;   in Loop: Header=BB1_84 Depth=1
	s_andn2_b64 vcc, exec, s[0:1]
	s_cbranch_vccnz .LBB1_174
; %bb.173:                              ;   in Loop: Header=BB1_84 Depth=1
	s_add_u32 s8, s36, 0x1000
	s_addc_u32 s9, s37, 0
	s_mov_b64 s[4:5], s[38:39]
	s_mov_b64 s[10:11], s[34:35]
	s_mov_b32 s12, s45
	s_mov_b32 s13, s44
	;; [unrolled: 1-line block ×3, first 2 shown]
	v_mov_b32_e32 v31, v40
	s_getpc_b64 s[0:1]
	s_add_u32 s0, s0, _Z53ncclDevFunc_AllReduce_RING_SIMPLE_PreMulSum_f16_1_0_2v@rel32@lo+4
	s_addc_u32 s1, s1, _Z53ncclDevFunc_AllReduce_RING_SIMPLE_PreMulSum_f16_1_0_2v@rel32@hi+12
	s_swappc_b64 s[30:31], s[0:1]
.LBB1_174:                              ;   in Loop: Header=BB1_84 Depth=1
	s_mov_b64 s[0:1], 0
.LBB1_175:                              ;   in Loop: Header=BB1_84 Depth=1
	s_and_b64 vcc, exec, s[0:1]
	s_cbranch_vccz .LBB1_180
; %bb.176:                              ;   in Loop: Header=BB1_84 Depth=1
	s_cmpk_eq_i32 s55, 0x9d
	s_mov_b64 s[0:1], -1
	s_cbranch_scc1 .LBB1_178
; %bb.177:                              ;   in Loop: Header=BB1_84 Depth=1
	s_add_u32 s8, s36, 0x1000
	s_addc_u32 s9, s37, 0
	s_mov_b64 s[4:5], s[38:39]
	s_mov_b64 s[10:11], s[34:35]
	s_mov_b32 s12, s45
	s_mov_b32 s13, s44
	;; [unrolled: 1-line block ×3, first 2 shown]
	v_mov_b32_e32 v31, v40
	s_getpc_b64 s[0:1]
	s_add_u32 s0, s0, _Z53ncclDevFunc_AllReduce_RING_SIMPLE_PreMulSum_u64_1_0_2v@rel32@lo+4
	s_addc_u32 s1, s1, _Z53ncclDevFunc_AllReduce_RING_SIMPLE_PreMulSum_u64_1_0_2v@rel32@hi+12
	s_swappc_b64 s[30:31], s[0:1]
	s_mov_b64 s[0:1], 0
.LBB1_178:                              ;   in Loop: Header=BB1_84 Depth=1
	s_andn2_b64 vcc, exec, s[0:1]
	s_cbranch_vccnz .LBB1_180
; %bb.179:                              ;   in Loop: Header=BB1_84 Depth=1
	s_add_u32 s8, s36, 0x1000
	s_addc_u32 s9, s37, 0
	s_mov_b64 s[4:5], s[38:39]
	s_mov_b64 s[10:11], s[34:35]
	s_mov_b32 s12, s45
	s_mov_b32 s13, s44
	;; [unrolled: 1-line block ×3, first 2 shown]
	v_mov_b32_e32 v31, v40
	s_getpc_b64 s[0:1]
	s_add_u32 s0, s0, _Z53ncclDevFunc_AllReduce_RING_SIMPLE_PreMulSum_f16_0_0_2v@rel32@lo+4
	s_addc_u32 s1, s1, _Z53ncclDevFunc_AllReduce_RING_SIMPLE_PreMulSum_f16_0_0_2v@rel32@hi+12
	s_swappc_b64 s[30:31], s[0:1]
.LBB1_180:                              ;   in Loop: Header=BB1_84 Depth=1
	s_mov_b64 s[0:1], 0
.LBB1_181:                              ;   in Loop: Header=BB1_84 Depth=1
	s_andn2_b64 vcc, exec, s[0:1]
	s_cbranch_vccnz .LBB1_259
; %bb.182:                              ;   in Loop: Header=BB1_84 Depth=1
	s_cmpk_gt_u32 s55, 0x90
	s_mov_b64 s[0:1], -1
	s_cbranch_scc0 .LBB1_221
; %bb.183:                              ;   in Loop: Header=BB1_84 Depth=1
	s_cmpk_gt_u32 s55, 0x95
	s_cbranch_scc0 .LBB1_204
; %bb.184:                              ;   in Loop: Header=BB1_84 Depth=1
	s_cmpk_gt_u32 s55, 0x98
	s_cbranch_scc0 .LBB1_194
; %bb.185:                              ;   in Loop: Header=BB1_84 Depth=1
	v_mov_b32_e32 v0, 0x9a
	v_cmp_lt_i16_sdwa s[2:3], s55, v0 src0_sel:BYTE_0 src1_sel:DWORD
	s_and_b64 vcc, exec, s[2:3]
	s_cbranch_vccnz .LBB1_191
; %bb.186:                              ;   in Loop: Header=BB1_84 Depth=1
	v_cmp_ne_u16_sdwa s[2:3], s55, v0 src0_sel:BYTE_0 src1_sel:DWORD
	s_and_b64 vcc, exec, s[2:3]
	s_cbranch_vccz .LBB1_188
; %bb.187:                              ;   in Loop: Header=BB1_84 Depth=1
	s_add_u32 s8, s36, 0x1000
	s_addc_u32 s9, s37, 0
	s_mov_b64 s[4:5], s[38:39]
	s_mov_b64 s[10:11], s[34:35]
	s_mov_b32 s12, s45
	s_mov_b32 s13, s44
	;; [unrolled: 1-line block ×3, first 2 shown]
	v_mov_b32_e32 v31, v40
	s_getpc_b64 s[0:1]
	s_add_u32 s0, s0, _Z53ncclDevFunc_AllReduce_RING_SIMPLE_PreMulSum_u64_0_0_2v@rel32@lo+4
	s_addc_u32 s1, s1, _Z53ncclDevFunc_AllReduce_RING_SIMPLE_PreMulSum_u64_0_0_2v@rel32@hi+12
	s_swappc_b64 s[30:31], s[0:1]
	s_mov_b64 s[0:1], 0
.LBB1_188:                              ;   in Loop: Header=BB1_84 Depth=1
	s_andn2_b64 vcc, exec, s[0:1]
	s_cbranch_vccnz .LBB1_190
; %bb.189:                              ;   in Loop: Header=BB1_84 Depth=1
	s_add_u32 s8, s36, 0x1000
	s_addc_u32 s9, s37, 0
	s_mov_b64 s[4:5], s[38:39]
	s_mov_b64 s[10:11], s[34:35]
	s_mov_b32 s12, s45
	s_mov_b32 s13, s44
	;; [unrolled: 1-line block ×3, first 2 shown]
	v_mov_b32_e32 v31, v40
	s_getpc_b64 s[0:1]
	s_add_u32 s0, s0, _Z53ncclDevFunc_AllReduce_RING_SIMPLE_PreMulSum_u32_1_0_2v@rel32@lo+4
	s_addc_u32 s1, s1, _Z53ncclDevFunc_AllReduce_RING_SIMPLE_PreMulSum_u32_1_0_2v@rel32@hi+12
	s_swappc_b64 s[30:31], s[0:1]
.LBB1_190:                              ;   in Loop: Header=BB1_84 Depth=1
	s_mov_b64 s[0:1], 0
.LBB1_191:                              ;   in Loop: Header=BB1_84 Depth=1
	s_andn2_b64 vcc, exec, s[0:1]
	s_cbranch_vccnz .LBB1_193
; %bb.192:                              ;   in Loop: Header=BB1_84 Depth=1
	s_add_u32 s8, s36, 0x1000
	s_addc_u32 s9, s37, 0
	s_mov_b64 s[4:5], s[38:39]
	s_mov_b64 s[10:11], s[34:35]
	s_mov_b32 s12, s45
	s_mov_b32 s13, s44
	;; [unrolled: 1-line block ×3, first 2 shown]
	v_mov_b32_e32 v31, v40
	s_getpc_b64 s[0:1]
	s_add_u32 s0, s0, _Z53ncclDevFunc_AllReduce_RING_SIMPLE_PreMulSum_u32_0_0_2v@rel32@lo+4
	s_addc_u32 s1, s1, _Z53ncclDevFunc_AllReduce_RING_SIMPLE_PreMulSum_u32_0_0_2v@rel32@hi+12
	s_swappc_b64 s[30:31], s[0:1]
.LBB1_193:                              ;   in Loop: Header=BB1_84 Depth=1
	s_mov_b64 s[0:1], 0
.LBB1_194:                              ;   in Loop: Header=BB1_84 Depth=1
	s_and_b64 vcc, exec, s[0:1]
	s_cbranch_vccz .LBB1_203
; %bb.195:                              ;   in Loop: Header=BB1_84 Depth=1
	v_mov_b32_e32 v0, 0x97
	v_cmp_lt_i16_sdwa s[2:3], s55, v0 src0_sel:BYTE_0 src1_sel:DWORD
	s_mov_b64 s[0:1], -1
	s_and_b64 vcc, exec, s[2:3]
	s_cbranch_vccnz .LBB1_201
; %bb.196:                              ;   in Loop: Header=BB1_84 Depth=1
	v_cmp_ne_u16_sdwa s[2:3], s55, v0 src0_sel:BYTE_0 src1_sel:DWORD
	s_and_b64 vcc, exec, s[2:3]
	s_cbranch_vccz .LBB1_198
; %bb.197:                              ;   in Loop: Header=BB1_84 Depth=1
	s_add_u32 s8, s36, 0x1000
	s_addc_u32 s9, s37, 0
	s_mov_b64 s[4:5], s[38:39]
	s_mov_b64 s[10:11], s[34:35]
	s_mov_b32 s12, s45
	s_mov_b32 s13, s44
	s_mov_b32 s14, s33
	v_mov_b32_e32 v31, v40
	s_getpc_b64 s[0:1]
	s_add_u32 s0, s0, _Z52ncclDevFunc_AllReduce_RING_SIMPLE_PreMulSum_u8_1_0_2v@rel32@lo+4
	s_addc_u32 s1, s1, _Z52ncclDevFunc_AllReduce_RING_SIMPLE_PreMulSum_u8_1_0_2v@rel32@hi+12
	s_swappc_b64 s[30:31], s[0:1]
	s_mov_b64 s[0:1], 0
.LBB1_198:                              ;   in Loop: Header=BB1_84 Depth=1
	s_andn2_b64 vcc, exec, s[0:1]
	s_cbranch_vccnz .LBB1_200
; %bb.199:                              ;   in Loop: Header=BB1_84 Depth=1
	s_add_u32 s8, s36, 0x1000
	s_addc_u32 s9, s37, 0
	s_mov_b64 s[4:5], s[38:39]
	s_mov_b64 s[10:11], s[34:35]
	s_mov_b32 s12, s45
	s_mov_b32 s13, s44
	;; [unrolled: 1-line block ×3, first 2 shown]
	v_mov_b32_e32 v31, v40
	s_getpc_b64 s[0:1]
	s_add_u32 s0, s0, _Z52ncclDevFunc_AllReduce_RING_SIMPLE_PreMulSum_u8_0_0_2v@rel32@lo+4
	s_addc_u32 s1, s1, _Z52ncclDevFunc_AllReduce_RING_SIMPLE_PreMulSum_u8_0_0_2v@rel32@hi+12
	s_swappc_b64 s[30:31], s[0:1]
.LBB1_200:                              ;   in Loop: Header=BB1_84 Depth=1
	s_mov_b64 s[0:1], 0
.LBB1_201:                              ;   in Loop: Header=BB1_84 Depth=1
	s_andn2_b64 vcc, exec, s[0:1]
	s_cbranch_vccnz .LBB1_203
; %bb.202:                              ;   in Loop: Header=BB1_84 Depth=1
	s_add_u32 s8, s36, 0x1000
	s_addc_u32 s9, s37, 0
	s_mov_b64 s[4:5], s[38:39]
	s_mov_b64 s[10:11], s[34:35]
	s_mov_b32 s12, s45
	s_mov_b32 s13, s44
	s_mov_b32 s14, s33
	v_mov_b32_e32 v31, v40
	s_getpc_b64 s[0:1]
	s_add_u32 s0, s0, _Z53ncclDevFunc_AllReduce_RING_SIMPLE_MinMax_f8e5m2_1_0_2v@rel32@lo+4
	s_addc_u32 s1, s1, _Z53ncclDevFunc_AllReduce_RING_SIMPLE_MinMax_f8e5m2_1_0_2v@rel32@hi+12
	s_swappc_b64 s[30:31], s[0:1]
.LBB1_203:                              ;   in Loop: Header=BB1_84 Depth=1
	s_mov_b64 s[0:1], 0
.LBB1_204:                              ;   in Loop: Header=BB1_84 Depth=1
	s_andn2_b64 vcc, exec, s[0:1]
	s_cbranch_vccnz .LBB1_220
; %bb.205:                              ;   in Loop: Header=BB1_84 Depth=1
	s_cmpk_gt_u32 s55, 0x92
	s_mov_b64 s[0:1], -1
	s_cbranch_scc0 .LBB1_215
; %bb.206:                              ;   in Loop: Header=BB1_84 Depth=1
	v_mov_b32_e32 v0, 0x94
	v_cmp_lt_i16_sdwa s[2:3], s55, v0 src0_sel:BYTE_0 src1_sel:DWORD
	s_and_b64 vcc, exec, s[2:3]
	s_cbranch_vccnz .LBB1_212
; %bb.207:                              ;   in Loop: Header=BB1_84 Depth=1
	v_cmp_ne_u16_sdwa s[2:3], s55, v0 src0_sel:BYTE_0 src1_sel:DWORD
	s_and_b64 vcc, exec, s[2:3]
	s_cbranch_vccz .LBB1_209
; %bb.208:                              ;   in Loop: Header=BB1_84 Depth=1
	s_add_u32 s8, s36, 0x1000
	s_addc_u32 s9, s37, 0
	s_mov_b64 s[4:5], s[38:39]
	s_mov_b64 s[10:11], s[34:35]
	s_mov_b32 s12, s45
	s_mov_b32 s13, s44
	;; [unrolled: 1-line block ×3, first 2 shown]
	v_mov_b32_e32 v31, v40
	s_getpc_b64 s[0:1]
	s_add_u32 s0, s0, _Z53ncclDevFunc_AllReduce_RING_SIMPLE_MinMax_f8e5m2_0_0_2v@rel32@lo+4
	s_addc_u32 s1, s1, _Z53ncclDevFunc_AllReduce_RING_SIMPLE_MinMax_f8e5m2_0_0_2v@rel32@hi+12
	s_swappc_b64 s[30:31], s[0:1]
	s_mov_b64 s[0:1], 0
.LBB1_209:                              ;   in Loop: Header=BB1_84 Depth=1
	s_andn2_b64 vcc, exec, s[0:1]
	s_cbranch_vccnz .LBB1_211
; %bb.210:                              ;   in Loop: Header=BB1_84 Depth=1
	s_add_u32 s8, s36, 0x1000
	s_addc_u32 s9, s37, 0
	s_mov_b64 s[4:5], s[38:39]
	s_mov_b64 s[10:11], s[34:35]
	s_mov_b32 s12, s45
	s_mov_b32 s13, s44
	s_mov_b32 s14, s33
	v_mov_b32_e32 v31, v40
	s_getpc_b64 s[0:1]
	s_add_u32 s0, s0, _Z53ncclDevFunc_AllReduce_RING_SIMPLE_MinMax_f8e4m3_1_0_2v@rel32@lo+4
	s_addc_u32 s1, s1, _Z53ncclDevFunc_AllReduce_RING_SIMPLE_MinMax_f8e4m3_1_0_2v@rel32@hi+12
	s_swappc_b64 s[30:31], s[0:1]
.LBB1_211:                              ;   in Loop: Header=BB1_84 Depth=1
	s_mov_b64 s[0:1], 0
.LBB1_212:                              ;   in Loop: Header=BB1_84 Depth=1
	s_andn2_b64 vcc, exec, s[0:1]
	s_cbranch_vccnz .LBB1_214
; %bb.213:                              ;   in Loop: Header=BB1_84 Depth=1
	s_add_u32 s8, s36, 0x1000
	s_addc_u32 s9, s37, 0
	s_mov_b64 s[4:5], s[38:39]
	s_mov_b64 s[10:11], s[34:35]
	s_mov_b32 s12, s45
	s_mov_b32 s13, s44
	;; [unrolled: 1-line block ×3, first 2 shown]
	v_mov_b32_e32 v31, v40
	s_getpc_b64 s[0:1]
	s_add_u32 s0, s0, _Z53ncclDevFunc_AllReduce_RING_SIMPLE_MinMax_f8e4m3_0_0_2v@rel32@lo+4
	s_addc_u32 s1, s1, _Z53ncclDevFunc_AllReduce_RING_SIMPLE_MinMax_f8e4m3_0_0_2v@rel32@hi+12
	s_swappc_b64 s[30:31], s[0:1]
.LBB1_214:                              ;   in Loop: Header=BB1_84 Depth=1
	s_mov_b64 s[0:1], 0
.LBB1_215:                              ;   in Loop: Header=BB1_84 Depth=1
	s_and_b64 vcc, exec, s[0:1]
	s_cbranch_vccz .LBB1_220
; %bb.216:                              ;   in Loop: Header=BB1_84 Depth=1
	s_cmpk_eq_i32 s55, 0x92
	s_mov_b64 s[0:1], -1
	s_cbranch_scc1 .LBB1_218
; %bb.217:                              ;   in Loop: Header=BB1_84 Depth=1
	s_add_u32 s8, s36, 0x1000
	s_addc_u32 s9, s37, 0
	s_mov_b64 s[4:5], s[38:39]
	s_mov_b64 s[10:11], s[34:35]
	s_mov_b32 s12, s45
	s_mov_b32 s13, s44
	;; [unrolled: 1-line block ×3, first 2 shown]
	v_mov_b32_e32 v31, v40
	s_getpc_b64 s[0:1]
	s_add_u32 s0, s0, _Z51ncclDevFunc_AllReduce_RING_SIMPLE_MinMax_bf16_1_0_2v@rel32@lo+4
	s_addc_u32 s1, s1, _Z51ncclDevFunc_AllReduce_RING_SIMPLE_MinMax_bf16_1_0_2v@rel32@hi+12
	s_swappc_b64 s[30:31], s[0:1]
	s_mov_b64 s[0:1], 0
.LBB1_218:                              ;   in Loop: Header=BB1_84 Depth=1
	s_andn2_b64 vcc, exec, s[0:1]
	s_cbranch_vccnz .LBB1_220
; %bb.219:                              ;   in Loop: Header=BB1_84 Depth=1
	s_add_u32 s8, s36, 0x1000
	s_addc_u32 s9, s37, 0
	s_mov_b64 s[4:5], s[38:39]
	s_mov_b64 s[10:11], s[34:35]
	s_mov_b32 s12, s45
	s_mov_b32 s13, s44
	;; [unrolled: 1-line block ×3, first 2 shown]
	v_mov_b32_e32 v31, v40
	s_getpc_b64 s[0:1]
	s_add_u32 s0, s0, _Z51ncclDevFunc_AllReduce_RING_SIMPLE_MinMax_bf16_1_1_2v@rel32@lo+4
	s_addc_u32 s1, s1, _Z51ncclDevFunc_AllReduce_RING_SIMPLE_MinMax_bf16_1_1_2v@rel32@hi+12
	s_swappc_b64 s[30:31], s[0:1]
.LBB1_220:                              ;   in Loop: Header=BB1_84 Depth=1
	s_mov_b64 s[0:1], 0
.LBB1_221:                              ;   in Loop: Header=BB1_84 Depth=1
	s_andn2_b64 vcc, exec, s[0:1]
	s_cbranch_vccnz .LBB1_259
; %bb.222:                              ;   in Loop: Header=BB1_84 Depth=1
	s_cmpk_gt_u32 s55, 0x8a
	s_mov_b64 s[0:1], -1
	s_cbranch_scc0 .LBB1_243
; %bb.223:                              ;   in Loop: Header=BB1_84 Depth=1
	s_cmpk_gt_u32 s55, 0x8d
	s_cbranch_scc0 .LBB1_233
; %bb.224:                              ;   in Loop: Header=BB1_84 Depth=1
	v_mov_b32_e32 v0, 0x8f
	v_cmp_lt_i16_sdwa s[2:3], s55, v0 src0_sel:BYTE_0 src1_sel:DWORD
	s_and_b64 vcc, exec, s[2:3]
	s_cbranch_vccnz .LBB1_230
; %bb.225:                              ;   in Loop: Header=BB1_84 Depth=1
	v_cmp_ne_u16_sdwa s[2:3], s55, v0 src0_sel:BYTE_0 src1_sel:DWORD
	s_and_b64 vcc, exec, s[2:3]
	s_cbranch_vccz .LBB1_227
; %bb.226:                              ;   in Loop: Header=BB1_84 Depth=1
	s_add_u32 s8, s36, 0x1000
	s_addc_u32 s9, s37, 0
	s_mov_b64 s[4:5], s[38:39]
	s_mov_b64 s[10:11], s[34:35]
	s_mov_b32 s12, s45
	s_mov_b32 s13, s44
	;; [unrolled: 1-line block ×3, first 2 shown]
	v_mov_b32_e32 v31, v40
	s_getpc_b64 s[0:1]
	s_add_u32 s0, s0, _Z51ncclDevFunc_AllReduce_RING_SIMPLE_MinMax_bf16_0_1_2v@rel32@lo+4
	s_addc_u32 s1, s1, _Z51ncclDevFunc_AllReduce_RING_SIMPLE_MinMax_bf16_0_1_2v@rel32@hi+12
	s_swappc_b64 s[30:31], s[0:1]
	s_mov_b64 s[0:1], 0
.LBB1_227:                              ;   in Loop: Header=BB1_84 Depth=1
	s_andn2_b64 vcc, exec, s[0:1]
	s_cbranch_vccnz .LBB1_229
; %bb.228:                              ;   in Loop: Header=BB1_84 Depth=1
	s_add_u32 s8, s36, 0x1000
	s_addc_u32 s9, s37, 0
	s_mov_b64 s[4:5], s[38:39]
	s_mov_b64 s[10:11], s[34:35]
	s_mov_b32 s12, s45
	s_mov_b32 s13, s44
	s_mov_b32 s14, s33
	v_mov_b32_e32 v31, v40
	s_getpc_b64 s[0:1]
	s_add_u32 s0, s0, _Z51ncclDevFunc_AllReduce_RING_SIMPLE_MinMax_bf16_0_0_2v@rel32@lo+4
	s_addc_u32 s1, s1, _Z51ncclDevFunc_AllReduce_RING_SIMPLE_MinMax_bf16_0_0_2v@rel32@hi+12
	s_swappc_b64 s[30:31], s[0:1]
.LBB1_229:                              ;   in Loop: Header=BB1_84 Depth=1
	s_mov_b64 s[0:1], 0
.LBB1_230:                              ;   in Loop: Header=BB1_84 Depth=1
	s_andn2_b64 vcc, exec, s[0:1]
	s_cbranch_vccnz .LBB1_232
; %bb.231:                              ;   in Loop: Header=BB1_84 Depth=1
	s_add_u32 s8, s36, 0x1000
	s_addc_u32 s9, s37, 0
	s_mov_b64 s[4:5], s[38:39]
	s_mov_b64 s[10:11], s[34:35]
	s_mov_b32 s12, s45
	s_mov_b32 s13, s44
	;; [unrolled: 1-line block ×3, first 2 shown]
	v_mov_b32_e32 v31, v40
	s_getpc_b64 s[0:1]
	s_add_u32 s0, s0, _Z50ncclDevFunc_AllReduce_RING_SIMPLE_MinMax_f64_1_0_2v@rel32@lo+4
	s_addc_u32 s1, s1, _Z50ncclDevFunc_AllReduce_RING_SIMPLE_MinMax_f64_1_0_2v@rel32@hi+12
	s_swappc_b64 s[30:31], s[0:1]
.LBB1_232:                              ;   in Loop: Header=BB1_84 Depth=1
	s_mov_b64 s[0:1], 0
.LBB1_233:                              ;   in Loop: Header=BB1_84 Depth=1
	s_and_b64 vcc, exec, s[0:1]
	s_cbranch_vccz .LBB1_242
; %bb.234:                              ;   in Loop: Header=BB1_84 Depth=1
	v_mov_b32_e32 v0, 0x8c
	v_cmp_lt_i16_sdwa s[2:3], s55, v0 src0_sel:BYTE_0 src1_sel:DWORD
	s_mov_b64 s[0:1], -1
	s_and_b64 vcc, exec, s[2:3]
	s_cbranch_vccnz .LBB1_240
; %bb.235:                              ;   in Loop: Header=BB1_84 Depth=1
	v_cmp_ne_u16_sdwa s[2:3], s55, v0 src0_sel:BYTE_0 src1_sel:DWORD
	s_and_b64 vcc, exec, s[2:3]
	s_cbranch_vccz .LBB1_237
; %bb.236:                              ;   in Loop: Header=BB1_84 Depth=1
	s_add_u32 s8, s36, 0x1000
	s_addc_u32 s9, s37, 0
	s_mov_b64 s[4:5], s[38:39]
	s_mov_b64 s[10:11], s[34:35]
	s_mov_b32 s12, s45
	s_mov_b32 s13, s44
	;; [unrolled: 1-line block ×3, first 2 shown]
	v_mov_b32_e32 v31, v40
	s_getpc_b64 s[0:1]
	s_add_u32 s0, s0, _Z50ncclDevFunc_AllReduce_RING_SIMPLE_MinMax_f64_0_0_2v@rel32@lo+4
	s_addc_u32 s1, s1, _Z50ncclDevFunc_AllReduce_RING_SIMPLE_MinMax_f64_0_0_2v@rel32@hi+12
	s_swappc_b64 s[30:31], s[0:1]
	s_mov_b64 s[0:1], 0
.LBB1_237:                              ;   in Loop: Header=BB1_84 Depth=1
	s_andn2_b64 vcc, exec, s[0:1]
	s_cbranch_vccnz .LBB1_239
; %bb.238:                              ;   in Loop: Header=BB1_84 Depth=1
	s_add_u32 s8, s36, 0x1000
	s_addc_u32 s9, s37, 0
	s_mov_b64 s[4:5], s[38:39]
	s_mov_b64 s[10:11], s[34:35]
	s_mov_b32 s12, s45
	s_mov_b32 s13, s44
	;; [unrolled: 1-line block ×3, first 2 shown]
	v_mov_b32_e32 v31, v40
	s_getpc_b64 s[0:1]
	s_add_u32 s0, s0, _Z50ncclDevFunc_AllReduce_RING_SIMPLE_MinMax_f32_1_0_2v@rel32@lo+4
	s_addc_u32 s1, s1, _Z50ncclDevFunc_AllReduce_RING_SIMPLE_MinMax_f32_1_0_2v@rel32@hi+12
	s_swappc_b64 s[30:31], s[0:1]
.LBB1_239:                              ;   in Loop: Header=BB1_84 Depth=1
	s_mov_b64 s[0:1], 0
.LBB1_240:                              ;   in Loop: Header=BB1_84 Depth=1
	s_andn2_b64 vcc, exec, s[0:1]
	s_cbranch_vccnz .LBB1_242
; %bb.241:                              ;   in Loop: Header=BB1_84 Depth=1
	s_add_u32 s8, s36, 0x1000
	s_addc_u32 s9, s37, 0
	s_mov_b64 s[4:5], s[38:39]
	s_mov_b64 s[10:11], s[34:35]
	s_mov_b32 s12, s45
	s_mov_b32 s13, s44
	;; [unrolled: 1-line block ×3, first 2 shown]
	v_mov_b32_e32 v31, v40
	s_getpc_b64 s[0:1]
	s_add_u32 s0, s0, _Z50ncclDevFunc_AllReduce_RING_SIMPLE_MinMax_f32_0_0_2v@rel32@lo+4
	s_addc_u32 s1, s1, _Z50ncclDevFunc_AllReduce_RING_SIMPLE_MinMax_f32_0_0_2v@rel32@hi+12
	s_swappc_b64 s[30:31], s[0:1]
.LBB1_242:                              ;   in Loop: Header=BB1_84 Depth=1
	s_mov_b64 s[0:1], 0
.LBB1_243:                              ;   in Loop: Header=BB1_84 Depth=1
	s_andn2_b64 vcc, exec, s[0:1]
	s_cbranch_vccnz .LBB1_259
; %bb.244:                              ;   in Loop: Header=BB1_84 Depth=1
	s_cmpk_gt_u32 s55, 0x87
	s_mov_b64 s[0:1], -1
	s_cbranch_scc0 .LBB1_254
; %bb.245:                              ;   in Loop: Header=BB1_84 Depth=1
	v_mov_b32_e32 v0, 0x89
	v_cmp_lt_i16_sdwa s[2:3], s55, v0 src0_sel:BYTE_0 src1_sel:DWORD
	s_and_b64 vcc, exec, s[2:3]
	s_cbranch_vccnz .LBB1_251
; %bb.246:                              ;   in Loop: Header=BB1_84 Depth=1
	v_cmp_ne_u16_sdwa s[2:3], s55, v0 src0_sel:BYTE_0 src1_sel:DWORD
	s_and_b64 vcc, exec, s[2:3]
	s_cbranch_vccz .LBB1_248
; %bb.247:                              ;   in Loop: Header=BB1_84 Depth=1
	s_add_u32 s8, s36, 0x1000
	s_addc_u32 s9, s37, 0
	s_mov_b64 s[4:5], s[38:39]
	s_mov_b64 s[10:11], s[34:35]
	s_mov_b32 s12, s45
	s_mov_b32 s13, s44
	;; [unrolled: 1-line block ×3, first 2 shown]
	v_mov_b32_e32 v31, v40
	s_getpc_b64 s[0:1]
	s_add_u32 s0, s0, _Z50ncclDevFunc_AllReduce_RING_SIMPLE_MinMax_f16_1_0_2v@rel32@lo+4
	s_addc_u32 s1, s1, _Z50ncclDevFunc_AllReduce_RING_SIMPLE_MinMax_f16_1_0_2v@rel32@hi+12
	s_swappc_b64 s[30:31], s[0:1]
	s_mov_b64 s[0:1], 0
.LBB1_248:                              ;   in Loop: Header=BB1_84 Depth=1
	s_andn2_b64 vcc, exec, s[0:1]
	s_cbranch_vccnz .LBB1_250
; %bb.249:                              ;   in Loop: Header=BB1_84 Depth=1
	s_add_u32 s8, s36, 0x1000
	s_addc_u32 s9, s37, 0
	s_mov_b64 s[4:5], s[38:39]
	s_mov_b64 s[10:11], s[34:35]
	s_mov_b32 s12, s45
	s_mov_b32 s13, s44
	;; [unrolled: 1-line block ×3, first 2 shown]
	v_mov_b32_e32 v31, v40
	s_getpc_b64 s[0:1]
	s_add_u32 s0, s0, _Z50ncclDevFunc_AllReduce_RING_SIMPLE_MinMax_f16_0_0_2v@rel32@lo+4
	s_addc_u32 s1, s1, _Z50ncclDevFunc_AllReduce_RING_SIMPLE_MinMax_f16_0_0_2v@rel32@hi+12
	s_swappc_b64 s[30:31], s[0:1]
.LBB1_250:                              ;   in Loop: Header=BB1_84 Depth=1
	s_mov_b64 s[0:1], 0
.LBB1_251:                              ;   in Loop: Header=BB1_84 Depth=1
	s_andn2_b64 vcc, exec, s[0:1]
	s_cbranch_vccnz .LBB1_253
; %bb.252:                              ;   in Loop: Header=BB1_84 Depth=1
	s_add_u32 s8, s36, 0x1000
	s_addc_u32 s9, s37, 0
	s_mov_b64 s[4:5], s[38:39]
	s_mov_b64 s[10:11], s[34:35]
	s_mov_b32 s12, s45
	s_mov_b32 s13, s44
	;; [unrolled: 1-line block ×3, first 2 shown]
	v_mov_b32_e32 v31, v40
	s_getpc_b64 s[0:1]
	s_add_u32 s0, s0, _Z50ncclDevFunc_AllReduce_RING_SIMPLE_MinMax_u64_1_0_2v@rel32@lo+4
	s_addc_u32 s1, s1, _Z50ncclDevFunc_AllReduce_RING_SIMPLE_MinMax_u64_1_0_2v@rel32@hi+12
	s_swappc_b64 s[30:31], s[0:1]
.LBB1_253:                              ;   in Loop: Header=BB1_84 Depth=1
	s_mov_b64 s[0:1], 0
.LBB1_254:                              ;   in Loop: Header=BB1_84 Depth=1
	s_and_b64 vcc, exec, s[0:1]
	s_cbranch_vccz .LBB1_259
; %bb.255:                              ;   in Loop: Header=BB1_84 Depth=1
	s_cmpk_eq_i32 s55, 0x87
	s_mov_b64 s[0:1], -1
	s_cbranch_scc1 .LBB1_257
; %bb.256:                              ;   in Loop: Header=BB1_84 Depth=1
	s_add_u32 s8, s36, 0x1000
	s_addc_u32 s9, s37, 0
	s_mov_b64 s[4:5], s[38:39]
	s_mov_b64 s[10:11], s[34:35]
	s_mov_b32 s12, s45
	s_mov_b32 s13, s44
	;; [unrolled: 1-line block ×3, first 2 shown]
	v_mov_b32_e32 v31, v40
	s_getpc_b64 s[0:1]
	s_add_u32 s0, s0, _Z50ncclDevFunc_AllReduce_RING_SIMPLE_MinMax_u32_1_0_2v@rel32@lo+4
	s_addc_u32 s1, s1, _Z50ncclDevFunc_AllReduce_RING_SIMPLE_MinMax_u32_1_0_2v@rel32@hi+12
	s_swappc_b64 s[30:31], s[0:1]
	s_mov_b64 s[0:1], 0
.LBB1_257:                              ;   in Loop: Header=BB1_84 Depth=1
	s_andn2_b64 vcc, exec, s[0:1]
	s_cbranch_vccnz .LBB1_259
; %bb.258:                              ;   in Loop: Header=BB1_84 Depth=1
	s_add_u32 s8, s36, 0x1000
	s_addc_u32 s9, s37, 0
	s_mov_b64 s[4:5], s[38:39]
	s_mov_b64 s[10:11], s[34:35]
	s_mov_b32 s12, s45
	s_mov_b32 s13, s44
	s_mov_b32 s14, s33
	v_mov_b32_e32 v31, v40
	s_getpc_b64 s[0:1]
	s_add_u32 s0, s0, _Z50ncclDevFunc_AllReduce_RING_SIMPLE_MinMax_u64_0_0_2v@rel32@lo+4
	s_addc_u32 s1, s1, _Z50ncclDevFunc_AllReduce_RING_SIMPLE_MinMax_u64_0_0_2v@rel32@hi+12
	s_swappc_b64 s[30:31], s[0:1]
.LBB1_259:                              ;   in Loop: Header=BB1_84 Depth=1
	s_mov_b64 s[0:1], 0
.LBB1_260:                              ;   in Loop: Header=BB1_84 Depth=1
	s_andn2_b64 vcc, exec, s[0:1]
	s_cbranch_vccnz .LBB1_422
; %bb.261:                              ;   in Loop: Header=BB1_84 Depth=1
	s_cmpk_gt_u32 s55, 0x6e
	s_mov_b64 s[0:1], -1
	s_cbranch_scc0 .LBB1_344
; %bb.262:                              ;   in Loop: Header=BB1_84 Depth=1
	s_cmpk_gt_u32 s55, 0x79
	s_cbranch_scc0 .LBB1_305
; %bb.263:                              ;   in Loop: Header=BB1_84 Depth=1
	s_cmpk_gt_u32 s55, 0x7f
	;; [unrolled: 3-line block ×3, first 2 shown]
	s_cbranch_scc0 .LBB1_274
; %bb.265:                              ;   in Loop: Header=BB1_84 Depth=1
	v_mov_b32_e32 v0, 0x84
	v_cmp_lt_i16_sdwa s[2:3], s55, v0 src0_sel:BYTE_0 src1_sel:DWORD
	s_and_b64 vcc, exec, s[2:3]
	s_cbranch_vccnz .LBB1_271
; %bb.266:                              ;   in Loop: Header=BB1_84 Depth=1
	v_cmp_ne_u16_sdwa s[2:3], s55, v0 src0_sel:BYTE_0 src1_sel:DWORD
	s_and_b64 vcc, exec, s[2:3]
	s_cbranch_vccz .LBB1_268
; %bb.267:                              ;   in Loop: Header=BB1_84 Depth=1
	s_add_u32 s8, s36, 0x1000
	s_addc_u32 s9, s37, 0
	s_mov_b64 s[4:5], s[38:39]
	s_mov_b64 s[10:11], s[34:35]
	s_mov_b32 s12, s45
	s_mov_b32 s13, s44
	;; [unrolled: 1-line block ×3, first 2 shown]
	v_mov_b32_e32 v31, v40
	s_getpc_b64 s[0:1]
	s_add_u32 s0, s0, _Z50ncclDevFunc_AllReduce_RING_SIMPLE_MinMax_u32_0_0_2v@rel32@lo+4
	s_addc_u32 s1, s1, _Z50ncclDevFunc_AllReduce_RING_SIMPLE_MinMax_u32_0_0_2v@rel32@hi+12
	s_swappc_b64 s[30:31], s[0:1]
	s_mov_b64 s[0:1], 0
.LBB1_268:                              ;   in Loop: Header=BB1_84 Depth=1
	s_andn2_b64 vcc, exec, s[0:1]
	s_cbranch_vccnz .LBB1_270
; %bb.269:                              ;   in Loop: Header=BB1_84 Depth=1
	s_add_u32 s8, s36, 0x1000
	s_addc_u32 s9, s37, 0
	s_mov_b64 s[4:5], s[38:39]
	s_mov_b64 s[10:11], s[34:35]
	s_mov_b32 s12, s45
	s_mov_b32 s13, s44
	s_mov_b32 s14, s33
	v_mov_b32_e32 v31, v40
	s_getpc_b64 s[0:1]
	s_add_u32 s0, s0, _Z49ncclDevFunc_AllReduce_RING_SIMPLE_MinMax_u8_1_0_2v@rel32@lo+4
	s_addc_u32 s1, s1, _Z49ncclDevFunc_AllReduce_RING_SIMPLE_MinMax_u8_1_0_2v@rel32@hi+12
	s_swappc_b64 s[30:31], s[0:1]
.LBB1_270:                              ;   in Loop: Header=BB1_84 Depth=1
	s_mov_b64 s[0:1], 0
.LBB1_271:                              ;   in Loop: Header=BB1_84 Depth=1
	s_andn2_b64 vcc, exec, s[0:1]
	s_cbranch_vccnz .LBB1_273
; %bb.272:                              ;   in Loop: Header=BB1_84 Depth=1
	s_add_u32 s8, s36, 0x1000
	s_addc_u32 s9, s37, 0
	s_mov_b64 s[4:5], s[38:39]
	s_mov_b64 s[10:11], s[34:35]
	s_mov_b32 s12, s45
	s_mov_b32 s13, s44
	;; [unrolled: 1-line block ×3, first 2 shown]
	v_mov_b32_e32 v31, v40
	s_getpc_b64 s[0:1]
	s_add_u32 s0, s0, _Z49ncclDevFunc_AllReduce_RING_SIMPLE_MinMax_u8_0_0_2v@rel32@lo+4
	s_addc_u32 s1, s1, _Z49ncclDevFunc_AllReduce_RING_SIMPLE_MinMax_u8_0_0_2v@rel32@hi+12
	s_swappc_b64 s[30:31], s[0:1]
.LBB1_273:                              ;   in Loop: Header=BB1_84 Depth=1
	s_mov_b64 s[0:1], 0
.LBB1_274:                              ;   in Loop: Header=BB1_84 Depth=1
	s_and_b64 vcc, exec, s[0:1]
	s_cbranch_vccz .LBB1_283
; %bb.275:                              ;   in Loop: Header=BB1_84 Depth=1
	v_mov_b32_e32 v0, 0x81
	v_cmp_lt_i16_sdwa s[2:3], s55, v0 src0_sel:BYTE_0 src1_sel:DWORD
	s_mov_b64 s[0:1], -1
	s_and_b64 vcc, exec, s[2:3]
	s_cbranch_vccnz .LBB1_281
; %bb.276:                              ;   in Loop: Header=BB1_84 Depth=1
	v_cmp_ne_u16_sdwa s[2:3], s55, v0 src0_sel:BYTE_0 src1_sel:DWORD
	s_and_b64 vcc, exec, s[2:3]
	s_cbranch_vccz .LBB1_278
; %bb.277:                              ;   in Loop: Header=BB1_84 Depth=1
	s_add_u32 s8, s36, 0x1000
	s_addc_u32 s9, s37, 0
	s_mov_b64 s[4:5], s[38:39]
	s_mov_b64 s[10:11], s[34:35]
	s_mov_b32 s12, s45
	s_mov_b32 s13, s44
	;; [unrolled: 1-line block ×3, first 2 shown]
	v_mov_b32_e32 v31, v40
	s_getpc_b64 s[0:1]
	s_add_u32 s0, s0, _Z51ncclDevFunc_AllReduce_RING_SIMPLE_Prod_f8e5m2_1_0_2v@rel32@lo+4
	s_addc_u32 s1, s1, _Z51ncclDevFunc_AllReduce_RING_SIMPLE_Prod_f8e5m2_1_0_2v@rel32@hi+12
	s_swappc_b64 s[30:31], s[0:1]
	s_mov_b64 s[0:1], 0
.LBB1_278:                              ;   in Loop: Header=BB1_84 Depth=1
	s_andn2_b64 vcc, exec, s[0:1]
	s_cbranch_vccnz .LBB1_280
; %bb.279:                              ;   in Loop: Header=BB1_84 Depth=1
	s_add_u32 s8, s36, 0x1000
	s_addc_u32 s9, s37, 0
	s_mov_b64 s[4:5], s[38:39]
	s_mov_b64 s[10:11], s[34:35]
	s_mov_b32 s12, s45
	s_mov_b32 s13, s44
	;; [unrolled: 1-line block ×3, first 2 shown]
	v_mov_b32_e32 v31, v40
	s_getpc_b64 s[0:1]
	s_add_u32 s0, s0, _Z51ncclDevFunc_AllReduce_RING_SIMPLE_Prod_f8e5m2_0_0_2v@rel32@lo+4
	s_addc_u32 s1, s1, _Z51ncclDevFunc_AllReduce_RING_SIMPLE_Prod_f8e5m2_0_0_2v@rel32@hi+12
	s_swappc_b64 s[30:31], s[0:1]
.LBB1_280:                              ;   in Loop: Header=BB1_84 Depth=1
	s_mov_b64 s[0:1], 0
.LBB1_281:                              ;   in Loop: Header=BB1_84 Depth=1
	s_andn2_b64 vcc, exec, s[0:1]
	s_cbranch_vccnz .LBB1_283
; %bb.282:                              ;   in Loop: Header=BB1_84 Depth=1
	s_add_u32 s8, s36, 0x1000
	s_addc_u32 s9, s37, 0
	s_mov_b64 s[4:5], s[38:39]
	s_mov_b64 s[10:11], s[34:35]
	s_mov_b32 s12, s45
	s_mov_b32 s13, s44
	;; [unrolled: 1-line block ×3, first 2 shown]
	v_mov_b32_e32 v31, v40
	s_getpc_b64 s[0:1]
	s_add_u32 s0, s0, _Z51ncclDevFunc_AllReduce_RING_SIMPLE_Prod_f8e4m3_1_0_2v@rel32@lo+4
	s_addc_u32 s1, s1, _Z51ncclDevFunc_AllReduce_RING_SIMPLE_Prod_f8e4m3_1_0_2v@rel32@hi+12
	s_swappc_b64 s[30:31], s[0:1]
.LBB1_283:                              ;   in Loop: Header=BB1_84 Depth=1
	s_mov_b64 s[0:1], 0
.LBB1_284:                              ;   in Loop: Header=BB1_84 Depth=1
	s_andn2_b64 vcc, exec, s[0:1]
	s_cbranch_vccnz .LBB1_304
; %bb.285:                              ;   in Loop: Header=BB1_84 Depth=1
	s_cmpk_gt_u32 s55, 0x7c
	s_mov_b64 s[0:1], -1
	s_cbranch_scc0 .LBB1_295
; %bb.286:                              ;   in Loop: Header=BB1_84 Depth=1
	v_cmp_lt_i16_e32 vcc, s55, v60
	s_cbranch_vccnz .LBB1_292
; %bb.287:                              ;   in Loop: Header=BB1_84 Depth=1
	v_cmp_ne_u16_e32 vcc, s55, v60
	s_cbranch_vccz .LBB1_289
; %bb.288:                              ;   in Loop: Header=BB1_84 Depth=1
	s_add_u32 s8, s36, 0x1000
	s_addc_u32 s9, s37, 0
	s_mov_b64 s[4:5], s[38:39]
	s_mov_b64 s[10:11], s[34:35]
	s_mov_b32 s12, s45
	s_mov_b32 s13, s44
	;; [unrolled: 1-line block ×3, first 2 shown]
	v_mov_b32_e32 v31, v40
	s_getpc_b64 s[0:1]
	s_add_u32 s0, s0, _Z51ncclDevFunc_AllReduce_RING_SIMPLE_Prod_f8e4m3_0_0_2v@rel32@lo+4
	s_addc_u32 s1, s1, _Z51ncclDevFunc_AllReduce_RING_SIMPLE_Prod_f8e4m3_0_0_2v@rel32@hi+12
	s_swappc_b64 s[30:31], s[0:1]
	s_mov_b64 s[0:1], 0
.LBB1_289:                              ;   in Loop: Header=BB1_84 Depth=1
	s_andn2_b64 vcc, exec, s[0:1]
	s_cbranch_vccnz .LBB1_291
; %bb.290:                              ;   in Loop: Header=BB1_84 Depth=1
	s_add_u32 s8, s36, 0x1000
	s_addc_u32 s9, s37, 0
	s_mov_b64 s[4:5], s[38:39]
	s_mov_b64 s[10:11], s[34:35]
	s_mov_b32 s12, s45
	s_mov_b32 s13, s44
	;; [unrolled: 1-line block ×3, first 2 shown]
	v_mov_b32_e32 v31, v40
	s_getpc_b64 s[0:1]
	s_add_u32 s0, s0, _Z49ncclDevFunc_AllReduce_RING_SIMPLE_Prod_bf16_1_1_2v@rel32@lo+4
	s_addc_u32 s1, s1, _Z49ncclDevFunc_AllReduce_RING_SIMPLE_Prod_bf16_1_1_2v@rel32@hi+12
	s_swappc_b64 s[30:31], s[0:1]
.LBB1_291:                              ;   in Loop: Header=BB1_84 Depth=1
	s_mov_b64 s[0:1], 0
.LBB1_292:                              ;   in Loop: Header=BB1_84 Depth=1
	s_andn2_b64 vcc, exec, s[0:1]
	s_cbranch_vccnz .LBB1_294
; %bb.293:                              ;   in Loop: Header=BB1_84 Depth=1
	s_add_u32 s8, s36, 0x1000
	s_addc_u32 s9, s37, 0
	s_mov_b64 s[4:5], s[38:39]
	s_mov_b64 s[10:11], s[34:35]
	s_mov_b32 s12, s45
	s_mov_b32 s13, s44
	;; [unrolled: 1-line block ×3, first 2 shown]
	v_mov_b32_e32 v31, v40
	s_getpc_b64 s[0:1]
	s_add_u32 s0, s0, _Z49ncclDevFunc_AllReduce_RING_SIMPLE_Prod_bf16_1_0_2v@rel32@lo+4
	s_addc_u32 s1, s1, _Z49ncclDevFunc_AllReduce_RING_SIMPLE_Prod_bf16_1_0_2v@rel32@hi+12
	s_swappc_b64 s[30:31], s[0:1]
.LBB1_294:                              ;   in Loop: Header=BB1_84 Depth=1
	s_mov_b64 s[0:1], 0
.LBB1_295:                              ;   in Loop: Header=BB1_84 Depth=1
	s_and_b64 vcc, exec, s[0:1]
	s_cbranch_vccz .LBB1_304
; %bb.296:                              ;   in Loop: Header=BB1_84 Depth=1
	v_cmp_lt_i16_e32 vcc, s55, v61
	s_mov_b64 s[0:1], -1
	s_cbranch_vccnz .LBB1_302
; %bb.297:                              ;   in Loop: Header=BB1_84 Depth=1
	v_cmp_ne_u16_e32 vcc, s55, v61
	s_cbranch_vccz .LBB1_299
; %bb.298:                              ;   in Loop: Header=BB1_84 Depth=1
	s_add_u32 s8, s36, 0x1000
	s_addc_u32 s9, s37, 0
	s_mov_b64 s[4:5], s[38:39]
	s_mov_b64 s[10:11], s[34:35]
	s_mov_b32 s12, s45
	s_mov_b32 s13, s44
	;; [unrolled: 1-line block ×3, first 2 shown]
	v_mov_b32_e32 v31, v40
	s_getpc_b64 s[0:1]
	s_add_u32 s0, s0, _Z49ncclDevFunc_AllReduce_RING_SIMPLE_Prod_bf16_0_1_2v@rel32@lo+4
	s_addc_u32 s1, s1, _Z49ncclDevFunc_AllReduce_RING_SIMPLE_Prod_bf16_0_1_2v@rel32@hi+12
	s_swappc_b64 s[30:31], s[0:1]
	s_mov_b64 s[0:1], 0
.LBB1_299:                              ;   in Loop: Header=BB1_84 Depth=1
	s_andn2_b64 vcc, exec, s[0:1]
	s_cbranch_vccnz .LBB1_301
; %bb.300:                              ;   in Loop: Header=BB1_84 Depth=1
	s_add_u32 s8, s36, 0x1000
	s_addc_u32 s9, s37, 0
	s_mov_b64 s[4:5], s[38:39]
	s_mov_b64 s[10:11], s[34:35]
	s_mov_b32 s12, s45
	s_mov_b32 s13, s44
	;; [unrolled: 1-line block ×3, first 2 shown]
	v_mov_b32_e32 v31, v40
	s_getpc_b64 s[0:1]
	s_add_u32 s0, s0, _Z49ncclDevFunc_AllReduce_RING_SIMPLE_Prod_bf16_0_0_2v@rel32@lo+4
	s_addc_u32 s1, s1, _Z49ncclDevFunc_AllReduce_RING_SIMPLE_Prod_bf16_0_0_2v@rel32@hi+12
	s_swappc_b64 s[30:31], s[0:1]
.LBB1_301:                              ;   in Loop: Header=BB1_84 Depth=1
	s_mov_b64 s[0:1], 0
.LBB1_302:                              ;   in Loop: Header=BB1_84 Depth=1
	s_andn2_b64 vcc, exec, s[0:1]
	s_cbranch_vccnz .LBB1_304
; %bb.303:                              ;   in Loop: Header=BB1_84 Depth=1
	s_add_u32 s8, s36, 0x1000
	s_addc_u32 s9, s37, 0
	s_mov_b64 s[4:5], s[38:39]
	s_mov_b64 s[10:11], s[34:35]
	s_mov_b32 s12, s45
	s_mov_b32 s13, s44
	;; [unrolled: 1-line block ×3, first 2 shown]
	v_mov_b32_e32 v31, v40
	s_getpc_b64 s[0:1]
	s_add_u32 s0, s0, _Z48ncclDevFunc_AllReduce_RING_SIMPLE_Prod_f64_1_0_2v@rel32@lo+4
	s_addc_u32 s1, s1, _Z48ncclDevFunc_AllReduce_RING_SIMPLE_Prod_f64_1_0_2v@rel32@hi+12
	s_swappc_b64 s[30:31], s[0:1]
.LBB1_304:                              ;   in Loop: Header=BB1_84 Depth=1
	s_mov_b64 s[0:1], 0
.LBB1_305:                              ;   in Loop: Header=BB1_84 Depth=1
	s_andn2_b64 vcc, exec, s[0:1]
	s_cbranch_vccnz .LBB1_343
; %bb.306:                              ;   in Loop: Header=BB1_84 Depth=1
	s_cmpk_gt_u32 s55, 0x73
	s_mov_b64 s[0:1], -1
	s_cbranch_scc0 .LBB1_327
; %bb.307:                              ;   in Loop: Header=BB1_84 Depth=1
	s_cmpk_gt_u32 s55, 0x76
	s_cbranch_scc0 .LBB1_317
; %bb.308:                              ;   in Loop: Header=BB1_84 Depth=1
	v_cmp_lt_i16_e32 vcc, s55, v62
	s_cbranch_vccnz .LBB1_314
; %bb.309:                              ;   in Loop: Header=BB1_84 Depth=1
	v_cmp_ne_u16_e32 vcc, s55, v62
	s_cbranch_vccz .LBB1_311
; %bb.310:                              ;   in Loop: Header=BB1_84 Depth=1
	s_add_u32 s8, s36, 0x1000
	s_addc_u32 s9, s37, 0
	s_mov_b64 s[4:5], s[38:39]
	s_mov_b64 s[10:11], s[34:35]
	s_mov_b32 s12, s45
	s_mov_b32 s13, s44
	;; [unrolled: 1-line block ×3, first 2 shown]
	v_mov_b32_e32 v31, v40
	s_getpc_b64 s[0:1]
	s_add_u32 s0, s0, _Z48ncclDevFunc_AllReduce_RING_SIMPLE_Prod_f64_0_0_2v@rel32@lo+4
	s_addc_u32 s1, s1, _Z48ncclDevFunc_AllReduce_RING_SIMPLE_Prod_f64_0_0_2v@rel32@hi+12
	s_swappc_b64 s[30:31], s[0:1]
	s_mov_b64 s[0:1], 0
.LBB1_311:                              ;   in Loop: Header=BB1_84 Depth=1
	s_andn2_b64 vcc, exec, s[0:1]
	s_cbranch_vccnz .LBB1_313
; %bb.312:                              ;   in Loop: Header=BB1_84 Depth=1
	s_add_u32 s8, s36, 0x1000
	s_addc_u32 s9, s37, 0
	s_mov_b64 s[4:5], s[38:39]
	s_mov_b64 s[10:11], s[34:35]
	s_mov_b32 s12, s45
	s_mov_b32 s13, s44
	;; [unrolled: 1-line block ×3, first 2 shown]
	v_mov_b32_e32 v31, v40
	s_getpc_b64 s[0:1]
	s_add_u32 s0, s0, _Z48ncclDevFunc_AllReduce_RING_SIMPLE_Prod_f32_1_0_2v@rel32@lo+4
	s_addc_u32 s1, s1, _Z48ncclDevFunc_AllReduce_RING_SIMPLE_Prod_f32_1_0_2v@rel32@hi+12
	s_swappc_b64 s[30:31], s[0:1]
.LBB1_313:                              ;   in Loop: Header=BB1_84 Depth=1
	s_mov_b64 s[0:1], 0
.LBB1_314:                              ;   in Loop: Header=BB1_84 Depth=1
	s_andn2_b64 vcc, exec, s[0:1]
	s_cbranch_vccnz .LBB1_316
; %bb.315:                              ;   in Loop: Header=BB1_84 Depth=1
	s_add_u32 s8, s36, 0x1000
	s_addc_u32 s9, s37, 0
	s_mov_b64 s[4:5], s[38:39]
	s_mov_b64 s[10:11], s[34:35]
	s_mov_b32 s12, s45
	s_mov_b32 s13, s44
	;; [unrolled: 1-line block ×3, first 2 shown]
	v_mov_b32_e32 v31, v40
	s_getpc_b64 s[0:1]
	s_add_u32 s0, s0, _Z48ncclDevFunc_AllReduce_RING_SIMPLE_Prod_f32_0_0_2v@rel32@lo+4
	s_addc_u32 s1, s1, _Z48ncclDevFunc_AllReduce_RING_SIMPLE_Prod_f32_0_0_2v@rel32@hi+12
	s_swappc_b64 s[30:31], s[0:1]
.LBB1_316:                              ;   in Loop: Header=BB1_84 Depth=1
	s_mov_b64 s[0:1], 0
.LBB1_317:                              ;   in Loop: Header=BB1_84 Depth=1
	s_and_b64 vcc, exec, s[0:1]
	s_cbranch_vccz .LBB1_326
; %bb.318:                              ;   in Loop: Header=BB1_84 Depth=1
	v_cmp_lt_i16_e32 vcc, s55, v63
	s_mov_b64 s[0:1], -1
	s_cbranch_vccnz .LBB1_324
; %bb.319:                              ;   in Loop: Header=BB1_84 Depth=1
	v_cmp_ne_u16_e32 vcc, s55, v63
	s_cbranch_vccz .LBB1_321
; %bb.320:                              ;   in Loop: Header=BB1_84 Depth=1
	s_add_u32 s8, s36, 0x1000
	s_addc_u32 s9, s37, 0
	s_mov_b64 s[4:5], s[38:39]
	s_mov_b64 s[10:11], s[34:35]
	s_mov_b32 s12, s45
	s_mov_b32 s13, s44
	;; [unrolled: 1-line block ×3, first 2 shown]
	v_mov_b32_e32 v31, v40
	s_getpc_b64 s[0:1]
	s_add_u32 s0, s0, _Z48ncclDevFunc_AllReduce_RING_SIMPLE_Prod_f16_1_0_2v@rel32@lo+4
	s_addc_u32 s1, s1, _Z48ncclDevFunc_AllReduce_RING_SIMPLE_Prod_f16_1_0_2v@rel32@hi+12
	s_swappc_b64 s[30:31], s[0:1]
	s_mov_b64 s[0:1], 0
.LBB1_321:                              ;   in Loop: Header=BB1_84 Depth=1
	s_andn2_b64 vcc, exec, s[0:1]
	s_cbranch_vccnz .LBB1_323
; %bb.322:                              ;   in Loop: Header=BB1_84 Depth=1
	s_add_u32 s8, s36, 0x1000
	s_addc_u32 s9, s37, 0
	s_mov_b64 s[4:5], s[38:39]
	s_mov_b64 s[10:11], s[34:35]
	s_mov_b32 s12, s45
	s_mov_b32 s13, s44
	;; [unrolled: 1-line block ×3, first 2 shown]
	v_mov_b32_e32 v31, v40
	s_getpc_b64 s[0:1]
	s_add_u32 s0, s0, _Z48ncclDevFunc_AllReduce_RING_SIMPLE_Prod_f16_0_0_2v@rel32@lo+4
	s_addc_u32 s1, s1, _Z48ncclDevFunc_AllReduce_RING_SIMPLE_Prod_f16_0_0_2v@rel32@hi+12
	s_swappc_b64 s[30:31], s[0:1]
.LBB1_323:                              ;   in Loop: Header=BB1_84 Depth=1
	s_mov_b64 s[0:1], 0
.LBB1_324:                              ;   in Loop: Header=BB1_84 Depth=1
	s_andn2_b64 vcc, exec, s[0:1]
	s_cbranch_vccnz .LBB1_326
; %bb.325:                              ;   in Loop: Header=BB1_84 Depth=1
	s_add_u32 s8, s36, 0x1000
	s_addc_u32 s9, s37, 0
	s_mov_b64 s[4:5], s[38:39]
	s_mov_b64 s[10:11], s[34:35]
	s_mov_b32 s12, s45
	s_mov_b32 s13, s44
	;; [unrolled: 1-line block ×3, first 2 shown]
	v_mov_b32_e32 v31, v40
	s_getpc_b64 s[0:1]
	s_add_u32 s0, s0, _Z48ncclDevFunc_AllReduce_RING_SIMPLE_Prod_u64_1_0_2v@rel32@lo+4
	s_addc_u32 s1, s1, _Z48ncclDevFunc_AllReduce_RING_SIMPLE_Prod_u64_1_0_2v@rel32@hi+12
	s_swappc_b64 s[30:31], s[0:1]
.LBB1_326:                              ;   in Loop: Header=BB1_84 Depth=1
	s_mov_b64 s[0:1], 0
.LBB1_327:                              ;   in Loop: Header=BB1_84 Depth=1
	s_andn2_b64 vcc, exec, s[0:1]
	s_cbranch_vccnz .LBB1_343
; %bb.328:                              ;   in Loop: Header=BB1_84 Depth=1
	s_cmpk_gt_u32 s55, 0x70
	s_mov_b64 s[0:1], -1
	s_cbranch_scc0 .LBB1_338
; %bb.329:                              ;   in Loop: Header=BB1_84 Depth=1
	v_cmp_lt_i16_e32 vcc, s55, v72
	s_cbranch_vccnz .LBB1_335
; %bb.330:                              ;   in Loop: Header=BB1_84 Depth=1
	v_cmp_ne_u16_e32 vcc, s55, v72
	s_cbranch_vccz .LBB1_332
; %bb.331:                              ;   in Loop: Header=BB1_84 Depth=1
	s_add_u32 s8, s36, 0x1000
	s_addc_u32 s9, s37, 0
	s_mov_b64 s[4:5], s[38:39]
	s_mov_b64 s[10:11], s[34:35]
	s_mov_b32 s12, s45
	s_mov_b32 s13, s44
	s_mov_b32 s14, s33
	v_mov_b32_e32 v31, v40
	s_getpc_b64 s[0:1]
	s_add_u32 s0, s0, _Z48ncclDevFunc_AllReduce_RING_SIMPLE_Prod_u64_0_0_2v@rel32@lo+4
	s_addc_u32 s1, s1, _Z48ncclDevFunc_AllReduce_RING_SIMPLE_Prod_u64_0_0_2v@rel32@hi+12
	s_swappc_b64 s[30:31], s[0:1]
	s_mov_b64 s[0:1], 0
.LBB1_332:                              ;   in Loop: Header=BB1_84 Depth=1
	s_andn2_b64 vcc, exec, s[0:1]
	s_cbranch_vccnz .LBB1_334
; %bb.333:                              ;   in Loop: Header=BB1_84 Depth=1
	s_add_u32 s8, s36, 0x1000
	s_addc_u32 s9, s37, 0
	s_mov_b64 s[4:5], s[38:39]
	s_mov_b64 s[10:11], s[34:35]
	s_mov_b32 s12, s45
	s_mov_b32 s13, s44
	;; [unrolled: 1-line block ×3, first 2 shown]
	v_mov_b32_e32 v31, v40
	s_getpc_b64 s[0:1]
	s_add_u32 s0, s0, _Z48ncclDevFunc_AllReduce_RING_SIMPLE_Prod_u32_1_0_2v@rel32@lo+4
	s_addc_u32 s1, s1, _Z48ncclDevFunc_AllReduce_RING_SIMPLE_Prod_u32_1_0_2v@rel32@hi+12
	s_swappc_b64 s[30:31], s[0:1]
.LBB1_334:                              ;   in Loop: Header=BB1_84 Depth=1
	s_mov_b64 s[0:1], 0
.LBB1_335:                              ;   in Loop: Header=BB1_84 Depth=1
	s_andn2_b64 vcc, exec, s[0:1]
	s_cbranch_vccnz .LBB1_337
; %bb.336:                              ;   in Loop: Header=BB1_84 Depth=1
	s_add_u32 s8, s36, 0x1000
	s_addc_u32 s9, s37, 0
	s_mov_b64 s[4:5], s[38:39]
	s_mov_b64 s[10:11], s[34:35]
	s_mov_b32 s12, s45
	s_mov_b32 s13, s44
	;; [unrolled: 1-line block ×3, first 2 shown]
	v_mov_b32_e32 v31, v40
	s_getpc_b64 s[0:1]
	s_add_u32 s0, s0, _Z48ncclDevFunc_AllReduce_RING_SIMPLE_Prod_u32_0_0_2v@rel32@lo+4
	s_addc_u32 s1, s1, _Z48ncclDevFunc_AllReduce_RING_SIMPLE_Prod_u32_0_0_2v@rel32@hi+12
	s_swappc_b64 s[30:31], s[0:1]
.LBB1_337:                              ;   in Loop: Header=BB1_84 Depth=1
	s_mov_b64 s[0:1], 0
.LBB1_338:                              ;   in Loop: Header=BB1_84 Depth=1
	s_and_b64 vcc, exec, s[0:1]
	s_cbranch_vccz .LBB1_343
; %bb.339:                              ;   in Loop: Header=BB1_84 Depth=1
	s_cmpk_eq_i32 s55, 0x70
	s_mov_b64 s[0:1], -1
	s_cbranch_scc1 .LBB1_341
; %bb.340:                              ;   in Loop: Header=BB1_84 Depth=1
	s_add_u32 s8, s36, 0x1000
	s_addc_u32 s9, s37, 0
	s_mov_b64 s[4:5], s[38:39]
	s_mov_b64 s[10:11], s[34:35]
	s_mov_b32 s12, s45
	s_mov_b32 s13, s44
	;; [unrolled: 1-line block ×3, first 2 shown]
	v_mov_b32_e32 v31, v40
	s_getpc_b64 s[0:1]
	s_add_u32 s0, s0, _Z47ncclDevFunc_AllReduce_RING_SIMPLE_Prod_u8_0_0_2v@rel32@lo+4
	s_addc_u32 s1, s1, _Z47ncclDevFunc_AllReduce_RING_SIMPLE_Prod_u8_0_0_2v@rel32@hi+12
	s_swappc_b64 s[30:31], s[0:1]
	s_mov_b64 s[0:1], 0
.LBB1_341:                              ;   in Loop: Header=BB1_84 Depth=1
	s_andn2_b64 vcc, exec, s[0:1]
	s_cbranch_vccnz .LBB1_343
; %bb.342:                              ;   in Loop: Header=BB1_84 Depth=1
	s_add_u32 s8, s36, 0x1000
	s_addc_u32 s9, s37, 0
	s_mov_b64 s[4:5], s[38:39]
	s_mov_b64 s[10:11], s[34:35]
	s_mov_b32 s12, s45
	s_mov_b32 s13, s44
	;; [unrolled: 1-line block ×3, first 2 shown]
	v_mov_b32_e32 v31, v40
	s_getpc_b64 s[0:1]
	s_add_u32 s0, s0, _Z47ncclDevFunc_AllReduce_RING_SIMPLE_Prod_u8_1_0_2v@rel32@lo+4
	s_addc_u32 s1, s1, _Z47ncclDevFunc_AllReduce_RING_SIMPLE_Prod_u8_1_0_2v@rel32@hi+12
	s_swappc_b64 s[30:31], s[0:1]
.LBB1_343:                              ;   in Loop: Header=BB1_84 Depth=1
	s_mov_b64 s[0:1], 0
.LBB1_344:                              ;   in Loop: Header=BB1_84 Depth=1
	s_andn2_b64 vcc, exec, s[0:1]
	s_cbranch_vccnz .LBB1_422
; %bb.345:                              ;   in Loop: Header=BB1_84 Depth=1
	s_cmpk_gt_u32 s55, 0x63
	s_mov_b64 s[0:1], -1
	s_cbranch_scc0 .LBB1_384
; %bb.346:                              ;   in Loop: Header=BB1_84 Depth=1
	s_cmpk_gt_u32 s55, 0x68
	s_cbranch_scc0 .LBB1_367
; %bb.347:                              ;   in Loop: Header=BB1_84 Depth=1
	s_cmpk_gt_u32 s55, 0x6b
	s_cbranch_scc0 .LBB1_357
; %bb.348:                              ;   in Loop: Header=BB1_84 Depth=1
	v_cmp_lt_i16_e32 vcc, s55, v73
	s_cbranch_vccnz .LBB1_354
; %bb.349:                              ;   in Loop: Header=BB1_84 Depth=1
	v_cmp_ne_u16_e32 vcc, s55, v73
	s_cbranch_vccz .LBB1_351
; %bb.350:                              ;   in Loop: Header=BB1_84 Depth=1
	s_add_u32 s8, s36, 0x1000
	s_addc_u32 s9, s37, 0
	s_mov_b64 s[4:5], s[38:39]
	s_mov_b64 s[10:11], s[34:35]
	s_mov_b32 s12, s45
	s_mov_b32 s13, s44
	;; [unrolled: 1-line block ×3, first 2 shown]
	v_mov_b32_e32 v31, v40
	s_getpc_b64 s[0:1]
	s_add_u32 s0, s0, _Z50ncclDevFunc_AllReduce_RING_SIMPLE_Sum_f8e5m2_1_0_2v@rel32@lo+4
	s_addc_u32 s1, s1, _Z50ncclDevFunc_AllReduce_RING_SIMPLE_Sum_f8e5m2_1_0_2v@rel32@hi+12
	s_swappc_b64 s[30:31], s[0:1]
	s_mov_b64 s[0:1], 0
.LBB1_351:                              ;   in Loop: Header=BB1_84 Depth=1
	s_andn2_b64 vcc, exec, s[0:1]
	s_cbranch_vccnz .LBB1_353
; %bb.352:                              ;   in Loop: Header=BB1_84 Depth=1
	s_add_u32 s8, s36, 0x1000
	s_addc_u32 s9, s37, 0
	s_mov_b64 s[4:5], s[38:39]
	s_mov_b64 s[10:11], s[34:35]
	s_mov_b32 s12, s45
	s_mov_b32 s13, s44
	;; [unrolled: 1-line block ×3, first 2 shown]
	v_mov_b32_e32 v31, v40
	s_getpc_b64 s[0:1]
	s_add_u32 s0, s0, _Z50ncclDevFunc_AllReduce_RING_SIMPLE_Sum_f8e5m2_0_0_2v@rel32@lo+4
	s_addc_u32 s1, s1, _Z50ncclDevFunc_AllReduce_RING_SIMPLE_Sum_f8e5m2_0_0_2v@rel32@hi+12
	s_swappc_b64 s[30:31], s[0:1]
.LBB1_353:                              ;   in Loop: Header=BB1_84 Depth=1
	s_mov_b64 s[0:1], 0
.LBB1_354:                              ;   in Loop: Header=BB1_84 Depth=1
	s_andn2_b64 vcc, exec, s[0:1]
	s_cbranch_vccnz .LBB1_356
; %bb.355:                              ;   in Loop: Header=BB1_84 Depth=1
	s_add_u32 s8, s36, 0x1000
	s_addc_u32 s9, s37, 0
	s_mov_b64 s[4:5], s[38:39]
	s_mov_b64 s[10:11], s[34:35]
	s_mov_b32 s12, s45
	s_mov_b32 s13, s44
	s_mov_b32 s14, s33
	v_mov_b32_e32 v31, v40
	s_getpc_b64 s[0:1]
	s_add_u32 s0, s0, _Z50ncclDevFunc_AllReduce_RING_SIMPLE_Sum_f8e4m3_1_0_2v@rel32@lo+4
	s_addc_u32 s1, s1, _Z50ncclDevFunc_AllReduce_RING_SIMPLE_Sum_f8e4m3_1_0_2v@rel32@hi+12
	s_swappc_b64 s[30:31], s[0:1]
.LBB1_356:                              ;   in Loop: Header=BB1_84 Depth=1
	s_mov_b64 s[0:1], 0
.LBB1_357:                              ;   in Loop: Header=BB1_84 Depth=1
	s_and_b64 vcc, exec, s[0:1]
	s_cbranch_vccz .LBB1_366
; %bb.358:                              ;   in Loop: Header=BB1_84 Depth=1
	v_cmp_lt_i16_e32 vcc, s55, v74
	s_mov_b64 s[0:1], -1
	s_cbranch_vccnz .LBB1_364
; %bb.359:                              ;   in Loop: Header=BB1_84 Depth=1
	v_cmp_ne_u16_e32 vcc, s55, v74
	s_cbranch_vccz .LBB1_361
; %bb.360:                              ;   in Loop: Header=BB1_84 Depth=1
	s_add_u32 s8, s36, 0x1000
	s_addc_u32 s9, s37, 0
	s_mov_b64 s[4:5], s[38:39]
	s_mov_b64 s[10:11], s[34:35]
	s_mov_b32 s12, s45
	s_mov_b32 s13, s44
	;; [unrolled: 1-line block ×3, first 2 shown]
	v_mov_b32_e32 v31, v40
	s_getpc_b64 s[0:1]
	s_add_u32 s0, s0, _Z50ncclDevFunc_AllReduce_RING_SIMPLE_Sum_f8e4m3_0_0_2v@rel32@lo+4
	s_addc_u32 s1, s1, _Z50ncclDevFunc_AllReduce_RING_SIMPLE_Sum_f8e4m3_0_0_2v@rel32@hi+12
	s_swappc_b64 s[30:31], s[0:1]
	s_mov_b64 s[0:1], 0
.LBB1_361:                              ;   in Loop: Header=BB1_84 Depth=1
	s_andn2_b64 vcc, exec, s[0:1]
	s_cbranch_vccnz .LBB1_363
; %bb.362:                              ;   in Loop: Header=BB1_84 Depth=1
	s_add_u32 s8, s36, 0x1000
	s_addc_u32 s9, s37, 0
	s_mov_b64 s[4:5], s[38:39]
	s_mov_b64 s[10:11], s[34:35]
	s_mov_b32 s12, s45
	s_mov_b32 s13, s44
	;; [unrolled: 1-line block ×3, first 2 shown]
	v_mov_b32_e32 v31, v40
	s_getpc_b64 s[0:1]
	s_add_u32 s0, s0, _Z48ncclDevFunc_AllReduce_RING_SIMPLE_Sum_bf16_1_1_2v@rel32@lo+4
	s_addc_u32 s1, s1, _Z48ncclDevFunc_AllReduce_RING_SIMPLE_Sum_bf16_1_1_2v@rel32@hi+12
	s_swappc_b64 s[30:31], s[0:1]
.LBB1_363:                              ;   in Loop: Header=BB1_84 Depth=1
	s_mov_b64 s[0:1], 0
.LBB1_364:                              ;   in Loop: Header=BB1_84 Depth=1
	s_andn2_b64 vcc, exec, s[0:1]
	s_cbranch_vccnz .LBB1_366
; %bb.365:                              ;   in Loop: Header=BB1_84 Depth=1
	s_add_u32 s8, s36, 0x1000
	s_addc_u32 s9, s37, 0
	s_mov_b64 s[4:5], s[38:39]
	s_mov_b64 s[10:11], s[34:35]
	s_mov_b32 s12, s45
	s_mov_b32 s13, s44
	;; [unrolled: 1-line block ×3, first 2 shown]
	v_mov_b32_e32 v31, v40
	s_getpc_b64 s[0:1]
	s_add_u32 s0, s0, _Z48ncclDevFunc_AllReduce_RING_SIMPLE_Sum_bf16_1_0_2v@rel32@lo+4
	s_addc_u32 s1, s1, _Z48ncclDevFunc_AllReduce_RING_SIMPLE_Sum_bf16_1_0_2v@rel32@hi+12
	s_swappc_b64 s[30:31], s[0:1]
.LBB1_366:                              ;   in Loop: Header=BB1_84 Depth=1
	s_mov_b64 s[0:1], 0
.LBB1_367:                              ;   in Loop: Header=BB1_84 Depth=1
	s_andn2_b64 vcc, exec, s[0:1]
	s_cbranch_vccnz .LBB1_383
; %bb.368:                              ;   in Loop: Header=BB1_84 Depth=1
	s_cmpk_gt_u32 s55, 0x65
	s_mov_b64 s[0:1], -1
	s_cbranch_scc0 .LBB1_378
; %bb.369:                              ;   in Loop: Header=BB1_84 Depth=1
	v_cmp_lt_i16_e32 vcc, s55, v75
	s_cbranch_vccnz .LBB1_375
; %bb.370:                              ;   in Loop: Header=BB1_84 Depth=1
	v_cmp_ne_u16_e32 vcc, s55, v75
	s_cbranch_vccz .LBB1_372
; %bb.371:                              ;   in Loop: Header=BB1_84 Depth=1
	s_add_u32 s8, s36, 0x1000
	s_addc_u32 s9, s37, 0
	s_mov_b64 s[4:5], s[38:39]
	s_mov_b64 s[10:11], s[34:35]
	s_mov_b32 s12, s45
	s_mov_b32 s13, s44
	;; [unrolled: 1-line block ×3, first 2 shown]
	v_mov_b32_e32 v31, v40
	s_getpc_b64 s[0:1]
	s_add_u32 s0, s0, _Z48ncclDevFunc_AllReduce_RING_SIMPLE_Sum_bf16_0_1_2v@rel32@lo+4
	s_addc_u32 s1, s1, _Z48ncclDevFunc_AllReduce_RING_SIMPLE_Sum_bf16_0_1_2v@rel32@hi+12
	s_swappc_b64 s[30:31], s[0:1]
	s_mov_b64 s[0:1], 0
.LBB1_372:                              ;   in Loop: Header=BB1_84 Depth=1
	s_andn2_b64 vcc, exec, s[0:1]
	s_cbranch_vccnz .LBB1_374
; %bb.373:                              ;   in Loop: Header=BB1_84 Depth=1
	s_add_u32 s8, s36, 0x1000
	s_addc_u32 s9, s37, 0
	s_mov_b64 s[4:5], s[38:39]
	s_mov_b64 s[10:11], s[34:35]
	s_mov_b32 s12, s45
	s_mov_b32 s13, s44
	;; [unrolled: 1-line block ×3, first 2 shown]
	v_mov_b32_e32 v31, v40
	s_getpc_b64 s[0:1]
	s_add_u32 s0, s0, _Z48ncclDevFunc_AllReduce_RING_SIMPLE_Sum_bf16_0_0_2v@rel32@lo+4
	s_addc_u32 s1, s1, _Z48ncclDevFunc_AllReduce_RING_SIMPLE_Sum_bf16_0_0_2v@rel32@hi+12
	s_swappc_b64 s[30:31], s[0:1]
.LBB1_374:                              ;   in Loop: Header=BB1_84 Depth=1
	s_mov_b64 s[0:1], 0
.LBB1_375:                              ;   in Loop: Header=BB1_84 Depth=1
	s_andn2_b64 vcc, exec, s[0:1]
	s_cbranch_vccnz .LBB1_377
; %bb.376:                              ;   in Loop: Header=BB1_84 Depth=1
	s_add_u32 s8, s36, 0x1000
	s_addc_u32 s9, s37, 0
	s_mov_b64 s[4:5], s[38:39]
	s_mov_b64 s[10:11], s[34:35]
	s_mov_b32 s12, s45
	s_mov_b32 s13, s44
	;; [unrolled: 1-line block ×3, first 2 shown]
	v_mov_b32_e32 v31, v40
	s_getpc_b64 s[0:1]
	s_add_u32 s0, s0, _Z47ncclDevFunc_AllReduce_RING_SIMPLE_Sum_f64_1_0_2v@rel32@lo+4
	s_addc_u32 s1, s1, _Z47ncclDevFunc_AllReduce_RING_SIMPLE_Sum_f64_1_0_2v@rel32@hi+12
	s_swappc_b64 s[30:31], s[0:1]
.LBB1_377:                              ;   in Loop: Header=BB1_84 Depth=1
	s_mov_b64 s[0:1], 0
.LBB1_378:                              ;   in Loop: Header=BB1_84 Depth=1
	s_and_b64 vcc, exec, s[0:1]
	s_cbranch_vccz .LBB1_383
; %bb.379:                              ;   in Loop: Header=BB1_84 Depth=1
	s_cmpk_eq_i32 s55, 0x65
	s_mov_b64 s[0:1], -1
	s_cbranch_scc1 .LBB1_381
; %bb.380:                              ;   in Loop: Header=BB1_84 Depth=1
	s_add_u32 s8, s36, 0x1000
	s_addc_u32 s9, s37, 0
	s_mov_b64 s[4:5], s[38:39]
	s_mov_b64 s[10:11], s[34:35]
	s_mov_b32 s12, s45
	s_mov_b32 s13, s44
	;; [unrolled: 1-line block ×3, first 2 shown]
	v_mov_b32_e32 v31, v40
	s_getpc_b64 s[0:1]
	s_add_u32 s0, s0, _Z47ncclDevFunc_AllReduce_RING_SIMPLE_Sum_f32_1_0_2v@rel32@lo+4
	s_addc_u32 s1, s1, _Z47ncclDevFunc_AllReduce_RING_SIMPLE_Sum_f32_1_0_2v@rel32@hi+12
	s_swappc_b64 s[30:31], s[0:1]
	s_mov_b64 s[0:1], 0
.LBB1_381:                              ;   in Loop: Header=BB1_84 Depth=1
	s_andn2_b64 vcc, exec, s[0:1]
	s_cbranch_vccnz .LBB1_383
; %bb.382:                              ;   in Loop: Header=BB1_84 Depth=1
	s_add_u32 s8, s36, 0x1000
	s_addc_u32 s9, s37, 0
	s_mov_b64 s[4:5], s[38:39]
	s_mov_b64 s[10:11], s[34:35]
	s_mov_b32 s12, s45
	s_mov_b32 s13, s44
	;; [unrolled: 1-line block ×3, first 2 shown]
	v_mov_b32_e32 v31, v40
	s_getpc_b64 s[0:1]
	s_add_u32 s0, s0, _Z47ncclDevFunc_AllReduce_RING_SIMPLE_Sum_f64_0_0_2v@rel32@lo+4
	s_addc_u32 s1, s1, _Z47ncclDevFunc_AllReduce_RING_SIMPLE_Sum_f64_0_0_2v@rel32@hi+12
	s_swappc_b64 s[30:31], s[0:1]
.LBB1_383:                              ;   in Loop: Header=BB1_84 Depth=1
	s_mov_b64 s[0:1], 0
.LBB1_384:                              ;   in Loop: Header=BB1_84 Depth=1
	s_andn2_b64 vcc, exec, s[0:1]
	s_cbranch_vccnz .LBB1_422
; %bb.385:                              ;   in Loop: Header=BB1_84 Depth=1
	s_cmpk_gt_u32 s55, 0x5d
	s_mov_b64 s[0:1], -1
	s_cbranch_scc0 .LBB1_406
; %bb.386:                              ;   in Loop: Header=BB1_84 Depth=1
	s_cmpk_gt_u32 s55, 0x60
	s_cbranch_scc0 .LBB1_396
; %bb.387:                              ;   in Loop: Header=BB1_84 Depth=1
	v_cmp_lt_i16_e32 vcc, s55, v76
	s_cbranch_vccnz .LBB1_393
; %bb.388:                              ;   in Loop: Header=BB1_84 Depth=1
	v_cmp_ne_u16_e32 vcc, s55, v76
	s_cbranch_vccz .LBB1_390
; %bb.389:                              ;   in Loop: Header=BB1_84 Depth=1
	s_add_u32 s8, s36, 0x1000
	s_addc_u32 s9, s37, 0
	s_mov_b64 s[4:5], s[38:39]
	s_mov_b64 s[10:11], s[34:35]
	s_mov_b32 s12, s45
	s_mov_b32 s13, s44
	;; [unrolled: 1-line block ×3, first 2 shown]
	v_mov_b32_e32 v31, v40
	s_getpc_b64 s[0:1]
	s_add_u32 s0, s0, _Z47ncclDevFunc_AllReduce_RING_SIMPLE_Sum_f32_0_0_2v@rel32@lo+4
	s_addc_u32 s1, s1, _Z47ncclDevFunc_AllReduce_RING_SIMPLE_Sum_f32_0_0_2v@rel32@hi+12
	s_swappc_b64 s[30:31], s[0:1]
	s_mov_b64 s[0:1], 0
.LBB1_390:                              ;   in Loop: Header=BB1_84 Depth=1
	s_andn2_b64 vcc, exec, s[0:1]
	s_cbranch_vccnz .LBB1_392
; %bb.391:                              ;   in Loop: Header=BB1_84 Depth=1
	s_add_u32 s8, s36, 0x1000
	s_addc_u32 s9, s37, 0
	s_mov_b64 s[4:5], s[38:39]
	s_mov_b64 s[10:11], s[34:35]
	s_mov_b32 s12, s45
	s_mov_b32 s13, s44
	;; [unrolled: 1-line block ×3, first 2 shown]
	v_mov_b32_e32 v31, v40
	s_getpc_b64 s[0:1]
	s_add_u32 s0, s0, _Z47ncclDevFunc_AllReduce_RING_SIMPLE_Sum_f16_1_0_2v@rel32@lo+4
	s_addc_u32 s1, s1, _Z47ncclDevFunc_AllReduce_RING_SIMPLE_Sum_f16_1_0_2v@rel32@hi+12
	s_swappc_b64 s[30:31], s[0:1]
.LBB1_392:                              ;   in Loop: Header=BB1_84 Depth=1
	s_mov_b64 s[0:1], 0
.LBB1_393:                              ;   in Loop: Header=BB1_84 Depth=1
	s_andn2_b64 vcc, exec, s[0:1]
	s_cbranch_vccnz .LBB1_395
; %bb.394:                              ;   in Loop: Header=BB1_84 Depth=1
	s_add_u32 s8, s36, 0x1000
	s_addc_u32 s9, s37, 0
	s_mov_b64 s[4:5], s[38:39]
	s_mov_b64 s[10:11], s[34:35]
	s_mov_b32 s12, s45
	s_mov_b32 s13, s44
	;; [unrolled: 1-line block ×3, first 2 shown]
	v_mov_b32_e32 v31, v40
	s_getpc_b64 s[0:1]
	s_add_u32 s0, s0, _Z47ncclDevFunc_AllReduce_RING_SIMPLE_Sum_f16_0_0_2v@rel32@lo+4
	s_addc_u32 s1, s1, _Z47ncclDevFunc_AllReduce_RING_SIMPLE_Sum_f16_0_0_2v@rel32@hi+12
	s_swappc_b64 s[30:31], s[0:1]
.LBB1_395:                              ;   in Loop: Header=BB1_84 Depth=1
	s_mov_b64 s[0:1], 0
.LBB1_396:                              ;   in Loop: Header=BB1_84 Depth=1
	s_and_b64 vcc, exec, s[0:1]
	s_cbranch_vccz .LBB1_405
; %bb.397:                              ;   in Loop: Header=BB1_84 Depth=1
	v_cmp_lt_i16_e32 vcc, s55, v77
	s_mov_b64 s[0:1], -1
	s_cbranch_vccnz .LBB1_403
; %bb.398:                              ;   in Loop: Header=BB1_84 Depth=1
	v_cmp_ne_u16_e32 vcc, s55, v77
	s_cbranch_vccz .LBB1_400
; %bb.399:                              ;   in Loop: Header=BB1_84 Depth=1
	s_add_u32 s8, s36, 0x1000
	s_addc_u32 s9, s37, 0
	s_mov_b64 s[4:5], s[38:39]
	s_mov_b64 s[10:11], s[34:35]
	s_mov_b32 s12, s45
	s_mov_b32 s13, s44
	;; [unrolled: 1-line block ×3, first 2 shown]
	v_mov_b32_e32 v31, v40
	s_getpc_b64 s[0:1]
	s_add_u32 s0, s0, _Z47ncclDevFunc_AllReduce_RING_SIMPLE_Sum_u64_1_0_2v@rel32@lo+4
	s_addc_u32 s1, s1, _Z47ncclDevFunc_AllReduce_RING_SIMPLE_Sum_u64_1_0_2v@rel32@hi+12
	s_swappc_b64 s[30:31], s[0:1]
	s_mov_b64 s[0:1], 0
.LBB1_400:                              ;   in Loop: Header=BB1_84 Depth=1
	s_andn2_b64 vcc, exec, s[0:1]
	s_cbranch_vccnz .LBB1_402
; %bb.401:                              ;   in Loop: Header=BB1_84 Depth=1
	s_add_u32 s8, s36, 0x1000
	s_addc_u32 s9, s37, 0
	s_mov_b64 s[4:5], s[38:39]
	s_mov_b64 s[10:11], s[34:35]
	s_mov_b32 s12, s45
	s_mov_b32 s13, s44
	;; [unrolled: 1-line block ×3, first 2 shown]
	v_mov_b32_e32 v31, v40
	s_getpc_b64 s[0:1]
	s_add_u32 s0, s0, _Z47ncclDevFunc_AllReduce_RING_SIMPLE_Sum_u64_0_0_2v@rel32@lo+4
	s_addc_u32 s1, s1, _Z47ncclDevFunc_AllReduce_RING_SIMPLE_Sum_u64_0_0_2v@rel32@hi+12
	s_swappc_b64 s[30:31], s[0:1]
.LBB1_402:                              ;   in Loop: Header=BB1_84 Depth=1
	s_mov_b64 s[0:1], 0
.LBB1_403:                              ;   in Loop: Header=BB1_84 Depth=1
	s_andn2_b64 vcc, exec, s[0:1]
	s_cbranch_vccnz .LBB1_405
; %bb.404:                              ;   in Loop: Header=BB1_84 Depth=1
	s_add_u32 s8, s36, 0x1000
	s_addc_u32 s9, s37, 0
	s_mov_b64 s[4:5], s[38:39]
	s_mov_b64 s[10:11], s[34:35]
	s_mov_b32 s12, s45
	s_mov_b32 s13, s44
	;; [unrolled: 1-line block ×3, first 2 shown]
	v_mov_b32_e32 v31, v40
	s_getpc_b64 s[0:1]
	s_add_u32 s0, s0, _Z47ncclDevFunc_AllReduce_RING_SIMPLE_Sum_u32_1_0_2v@rel32@lo+4
	s_addc_u32 s1, s1, _Z47ncclDevFunc_AllReduce_RING_SIMPLE_Sum_u32_1_0_2v@rel32@hi+12
	s_swappc_b64 s[30:31], s[0:1]
.LBB1_405:                              ;   in Loop: Header=BB1_84 Depth=1
	s_mov_b64 s[0:1], 0
.LBB1_406:                              ;   in Loop: Header=BB1_84 Depth=1
	s_andn2_b64 vcc, exec, s[0:1]
	s_cbranch_vccnz .LBB1_422
; %bb.407:                              ;   in Loop: Header=BB1_84 Depth=1
	s_cmpk_gt_u32 s55, 0x5a
	s_mov_b64 s[0:1], -1
	s_cbranch_scc0 .LBB1_417
; %bb.408:                              ;   in Loop: Header=BB1_84 Depth=1
	v_cmp_lt_i16_e32 vcc, s55, v78
	s_cbranch_vccnz .LBB1_414
; %bb.409:                              ;   in Loop: Header=BB1_84 Depth=1
	v_cmp_ne_u16_e32 vcc, s55, v78
	s_cbranch_vccz .LBB1_411
; %bb.410:                              ;   in Loop: Header=BB1_84 Depth=1
	s_add_u32 s8, s36, 0x1000
	s_addc_u32 s9, s37, 0
	s_mov_b64 s[4:5], s[38:39]
	s_mov_b64 s[10:11], s[34:35]
	s_mov_b32 s12, s45
	s_mov_b32 s13, s44
	;; [unrolled: 1-line block ×3, first 2 shown]
	v_mov_b32_e32 v31, v40
	s_getpc_b64 s[0:1]
	s_add_u32 s0, s0, _Z47ncclDevFunc_AllReduce_RING_SIMPLE_Sum_u32_0_0_2v@rel32@lo+4
	s_addc_u32 s1, s1, _Z47ncclDevFunc_AllReduce_RING_SIMPLE_Sum_u32_0_0_2v@rel32@hi+12
	s_swappc_b64 s[30:31], s[0:1]
	s_mov_b64 s[0:1], 0
.LBB1_411:                              ;   in Loop: Header=BB1_84 Depth=1
	s_andn2_b64 vcc, exec, s[0:1]
	s_cbranch_vccnz .LBB1_413
; %bb.412:                              ;   in Loop: Header=BB1_84 Depth=1
	s_add_u32 s8, s36, 0x1000
	s_addc_u32 s9, s37, 0
	s_mov_b64 s[4:5], s[38:39]
	s_mov_b64 s[10:11], s[34:35]
	s_mov_b32 s12, s45
	s_mov_b32 s13, s44
	;; [unrolled: 1-line block ×3, first 2 shown]
	v_mov_b32_e32 v31, v40
	s_getpc_b64 s[0:1]
	s_add_u32 s0, s0, _Z46ncclDevFunc_AllReduce_RING_SIMPLE_Sum_u8_1_0_2v@rel32@lo+4
	s_addc_u32 s1, s1, _Z46ncclDevFunc_AllReduce_RING_SIMPLE_Sum_u8_1_0_2v@rel32@hi+12
	s_swappc_b64 s[30:31], s[0:1]
.LBB1_413:                              ;   in Loop: Header=BB1_84 Depth=1
	s_mov_b64 s[0:1], 0
.LBB1_414:                              ;   in Loop: Header=BB1_84 Depth=1
	s_andn2_b64 vcc, exec, s[0:1]
	s_cbranch_vccnz .LBB1_416
; %bb.415:                              ;   in Loop: Header=BB1_84 Depth=1
	s_add_u32 s8, s36, 0x1000
	s_addc_u32 s9, s37, 0
	s_mov_b64 s[4:5], s[38:39]
	s_mov_b64 s[10:11], s[34:35]
	s_mov_b32 s12, s45
	s_mov_b32 s13, s44
	;; [unrolled: 1-line block ×3, first 2 shown]
	v_mov_b32_e32 v31, v40
	s_getpc_b64 s[0:1]
	s_add_u32 s0, s0, _Z46ncclDevFunc_AllReduce_RING_SIMPLE_Sum_u8_0_0_2v@rel32@lo+4
	s_addc_u32 s1, s1, _Z46ncclDevFunc_AllReduce_RING_SIMPLE_Sum_u8_0_0_2v@rel32@hi+12
	s_swappc_b64 s[30:31], s[0:1]
.LBB1_416:                              ;   in Loop: Header=BB1_84 Depth=1
	s_mov_b64 s[0:1], 0
.LBB1_417:                              ;   in Loop: Header=BB1_84 Depth=1
	s_and_b64 vcc, exec, s[0:1]
	s_cbranch_vccz .LBB1_422
; %bb.418:                              ;   in Loop: Header=BB1_84 Depth=1
	s_cmpk_eq_i32 s55, 0x5a
	s_mov_b64 s[0:1], -1
	s_cbranch_scc1 .LBB1_420
; %bb.419:                              ;   in Loop: Header=BB1_84 Depth=1
	s_add_u32 s8, s36, 0x1000
	s_addc_u32 s9, s37, 0
	s_mov_b64 s[4:5], s[38:39]
	s_mov_b64 s[10:11], s[34:35]
	s_mov_b32 s12, s45
	s_mov_b32 s13, s44
	;; [unrolled: 1-line block ×3, first 2 shown]
	v_mov_b32_e32 v31, v40
	s_getpc_b64 s[0:1]
	s_add_u32 s0, s0, _Z54ncclDevFunc_ReduceScatter_RING_LL_SumPostDiv_u32_0_0_2v@rel32@lo+4
	s_addc_u32 s1, s1, _Z54ncclDevFunc_ReduceScatter_RING_LL_SumPostDiv_u32_0_0_2v@rel32@hi+12
	s_swappc_b64 s[30:31], s[0:1]
	s_mov_b64 s[0:1], 0
.LBB1_420:                              ;   in Loop: Header=BB1_84 Depth=1
	s_andn2_b64 vcc, exec, s[0:1]
	s_cbranch_vccnz .LBB1_422
; %bb.421:                              ;   in Loop: Header=BB1_84 Depth=1
	s_add_u32 s8, s36, 0x1000
	s_addc_u32 s9, s37, 0
	s_mov_b64 s[4:5], s[38:39]
	s_mov_b64 s[10:11], s[34:35]
	s_mov_b32 s12, s45
	s_mov_b32 s13, s44
	s_mov_b32 s14, s33
	v_mov_b32_e32 v31, v40
	s_getpc_b64 s[0:1]
	s_add_u32 s0, s0, _Z54ncclDevFunc_ReduceScatter_RING_LL_SumPostDiv_u64_0_0_2v@rel32@lo+4
	s_addc_u32 s1, s1, _Z54ncclDevFunc_ReduceScatter_RING_LL_SumPostDiv_u64_0_0_2v@rel32@hi+12
	s_swappc_b64 s[30:31], s[0:1]
.LBB1_422:                              ;   in Loop: Header=BB1_84 Depth=1
	s_mov_b64 s[0:1], 0
.LBB1_423:                              ;   in Loop: Header=BB1_84 Depth=1
	s_andn2_b64 vcc, exec, s[0:1]
	s_cbranch_vccnz .LBB1_734
; %bb.424:                              ;   in Loop: Header=BB1_84 Depth=1
	s_cmp_gt_u32 s55, 43
	s_mov_b64 s[0:1], -1
	s_cbranch_scc0 .LBB1_579
; %bb.425:                              ;   in Loop: Header=BB1_84 Depth=1
	s_cmpk_gt_u32 s55, 0x41
	s_cbranch_scc0 .LBB1_508
; %bb.426:                              ;   in Loop: Header=BB1_84 Depth=1
	s_cmpk_gt_u32 s55, 0x4c
	;; [unrolled: 3-line block ×4, first 2 shown]
	s_cbranch_scc0 .LBB1_438
; %bb.429:                              ;   in Loop: Header=BB1_84 Depth=1
	v_cmp_lt_i16_e32 vcc, s55, v79
	s_cbranch_vccnz .LBB1_435
; %bb.430:                              ;   in Loop: Header=BB1_84 Depth=1
	v_cmp_ne_u16_e32 vcc, s55, v79
	s_cbranch_vccz .LBB1_432
; %bb.431:                              ;   in Loop: Header=BB1_84 Depth=1
	s_add_u32 s8, s36, 0x1000
	s_addc_u32 s9, s37, 0
	s_mov_b64 s[4:5], s[38:39]
	s_mov_b64 s[10:11], s[34:35]
	s_mov_b32 s12, s45
	s_mov_b32 s13, s44
	;; [unrolled: 1-line block ×3, first 2 shown]
	v_mov_b32_e32 v31, v40
	s_getpc_b64 s[0:1]
	s_add_u32 s0, s0, _Z53ncclDevFunc_ReduceScatter_RING_LL_SumPostDiv_u8_0_0_2v@rel32@lo+4
	s_addc_u32 s1, s1, _Z53ncclDevFunc_ReduceScatter_RING_LL_SumPostDiv_u8_0_0_2v@rel32@hi+12
	s_swappc_b64 s[30:31], s[0:1]
	s_mov_b64 s[0:1], 0
.LBB1_432:                              ;   in Loop: Header=BB1_84 Depth=1
	s_andn2_b64 vcc, exec, s[0:1]
	s_cbranch_vccnz .LBB1_434
; %bb.433:                              ;   in Loop: Header=BB1_84 Depth=1
	s_add_u32 s8, s36, 0x1000
	s_addc_u32 s9, s37, 0
	s_mov_b64 s[4:5], s[38:39]
	s_mov_b64 s[10:11], s[34:35]
	s_mov_b32 s12, s45
	s_mov_b32 s13, s44
	;; [unrolled: 1-line block ×3, first 2 shown]
	v_mov_b32_e32 v31, v40
	s_getpc_b64 s[0:1]
	s_add_u32 s0, s0, _Z56ncclDevFunc_ReduceScatter_RING_LL_PreMulSum_f8e5m2_0_0_2v@rel32@lo+4
	s_addc_u32 s1, s1, _Z56ncclDevFunc_ReduceScatter_RING_LL_PreMulSum_f8e5m2_0_0_2v@rel32@hi+12
	s_swappc_b64 s[30:31], s[0:1]
.LBB1_434:                              ;   in Loop: Header=BB1_84 Depth=1
	s_mov_b64 s[0:1], 0
.LBB1_435:                              ;   in Loop: Header=BB1_84 Depth=1
	s_andn2_b64 vcc, exec, s[0:1]
	s_cbranch_vccnz .LBB1_437
; %bb.436:                              ;   in Loop: Header=BB1_84 Depth=1
	s_add_u32 s8, s36, 0x1000
	s_addc_u32 s9, s37, 0
	s_mov_b64 s[4:5], s[38:39]
	s_mov_b64 s[10:11], s[34:35]
	s_mov_b32 s12, s45
	s_mov_b32 s13, s44
	;; [unrolled: 1-line block ×3, first 2 shown]
	v_mov_b32_e32 v31, v40
	s_getpc_b64 s[0:1]
	s_add_u32 s0, s0, _Z56ncclDevFunc_ReduceScatter_RING_LL_PreMulSum_f8e4m3_0_0_2v@rel32@lo+4
	s_addc_u32 s1, s1, _Z56ncclDevFunc_ReduceScatter_RING_LL_PreMulSum_f8e4m3_0_0_2v@rel32@hi+12
	s_swappc_b64 s[30:31], s[0:1]
.LBB1_437:                              ;   in Loop: Header=BB1_84 Depth=1
	s_mov_b64 s[0:1], 0
.LBB1_438:                              ;   in Loop: Header=BB1_84 Depth=1
	s_and_b64 vcc, exec, s[0:1]
	s_cbranch_vccz .LBB1_447
; %bb.439:                              ;   in Loop: Header=BB1_84 Depth=1
	v_cmp_lt_i16_e32 vcc, s55, v88
	s_mov_b64 s[0:1], -1
	s_cbranch_vccnz .LBB1_445
; %bb.440:                              ;   in Loop: Header=BB1_84 Depth=1
	v_cmp_ne_u16_e32 vcc, s55, v88
	s_cbranch_vccz .LBB1_442
; %bb.441:                              ;   in Loop: Header=BB1_84 Depth=1
	s_add_u32 s8, s36, 0x1000
	s_addc_u32 s9, s37, 0
	s_mov_b64 s[4:5], s[38:39]
	s_mov_b64 s[10:11], s[34:35]
	s_mov_b32 s12, s45
	s_mov_b32 s13, s44
	;; [unrolled: 1-line block ×3, first 2 shown]
	v_mov_b32_e32 v31, v40
	s_getpc_b64 s[0:1]
	s_add_u32 s0, s0, _Z54ncclDevFunc_ReduceScatter_RING_LL_PreMulSum_bf16_0_0_2v@rel32@lo+4
	s_addc_u32 s1, s1, _Z54ncclDevFunc_ReduceScatter_RING_LL_PreMulSum_bf16_0_0_2v@rel32@hi+12
	s_swappc_b64 s[30:31], s[0:1]
	s_mov_b64 s[0:1], 0
.LBB1_442:                              ;   in Loop: Header=BB1_84 Depth=1
	s_andn2_b64 vcc, exec, s[0:1]
	s_cbranch_vccnz .LBB1_444
; %bb.443:                              ;   in Loop: Header=BB1_84 Depth=1
	s_add_u32 s8, s36, 0x1000
	s_addc_u32 s9, s37, 0
	s_mov_b64 s[4:5], s[38:39]
	s_mov_b64 s[10:11], s[34:35]
	s_mov_b32 s12, s45
	s_mov_b32 s13, s44
	;; [unrolled: 1-line block ×3, first 2 shown]
	v_mov_b32_e32 v31, v40
	s_getpc_b64 s[0:1]
	s_add_u32 s0, s0, _Z53ncclDevFunc_ReduceScatter_RING_LL_PreMulSum_f64_0_0_2v@rel32@lo+4
	s_addc_u32 s1, s1, _Z53ncclDevFunc_ReduceScatter_RING_LL_PreMulSum_f64_0_0_2v@rel32@hi+12
	s_swappc_b64 s[30:31], s[0:1]
.LBB1_444:                              ;   in Loop: Header=BB1_84 Depth=1
	s_mov_b64 s[0:1], 0
.LBB1_445:                              ;   in Loop: Header=BB1_84 Depth=1
	s_andn2_b64 vcc, exec, s[0:1]
	s_cbranch_vccnz .LBB1_447
; %bb.446:                              ;   in Loop: Header=BB1_84 Depth=1
	s_add_u32 s8, s36, 0x1000
	s_addc_u32 s9, s37, 0
	s_mov_b64 s[4:5], s[38:39]
	s_mov_b64 s[10:11], s[34:35]
	s_mov_b32 s12, s45
	s_mov_b32 s13, s44
	;; [unrolled: 1-line block ×3, first 2 shown]
	v_mov_b32_e32 v31, v40
	s_getpc_b64 s[0:1]
	s_add_u32 s0, s0, _Z53ncclDevFunc_ReduceScatter_RING_LL_PreMulSum_f32_0_0_2v@rel32@lo+4
	s_addc_u32 s1, s1, _Z53ncclDevFunc_ReduceScatter_RING_LL_PreMulSum_f32_0_0_2v@rel32@hi+12
	s_swappc_b64 s[30:31], s[0:1]
.LBB1_447:                              ;   in Loop: Header=BB1_84 Depth=1
	s_mov_b64 s[0:1], 0
.LBB1_448:                              ;   in Loop: Header=BB1_84 Depth=1
	s_andn2_b64 vcc, exec, s[0:1]
	s_cbranch_vccnz .LBB1_468
; %bb.449:                              ;   in Loop: Header=BB1_84 Depth=1
	s_cmpk_gt_u32 s55, 0x4f
	s_mov_b64 s[0:1], -1
	s_cbranch_scc0 .LBB1_459
; %bb.450:                              ;   in Loop: Header=BB1_84 Depth=1
	v_cmp_lt_i16_e32 vcc, s55, v89
	s_cbranch_vccnz .LBB1_456
; %bb.451:                              ;   in Loop: Header=BB1_84 Depth=1
	v_cmp_ne_u16_e32 vcc, s55, v89
	s_cbranch_vccz .LBB1_453
; %bb.452:                              ;   in Loop: Header=BB1_84 Depth=1
	s_add_u32 s8, s36, 0x1000
	s_addc_u32 s9, s37, 0
	s_mov_b64 s[4:5], s[38:39]
	s_mov_b64 s[10:11], s[34:35]
	s_mov_b32 s12, s45
	s_mov_b32 s13, s44
	;; [unrolled: 1-line block ×3, first 2 shown]
	v_mov_b32_e32 v31, v40
	s_getpc_b64 s[0:1]
	s_add_u32 s0, s0, _Z53ncclDevFunc_ReduceScatter_RING_LL_PreMulSum_f16_0_0_2v@rel32@lo+4
	s_addc_u32 s1, s1, _Z53ncclDevFunc_ReduceScatter_RING_LL_PreMulSum_f16_0_0_2v@rel32@hi+12
	s_swappc_b64 s[30:31], s[0:1]
	s_mov_b64 s[0:1], 0
.LBB1_453:                              ;   in Loop: Header=BB1_84 Depth=1
	s_andn2_b64 vcc, exec, s[0:1]
	s_cbranch_vccnz .LBB1_455
; %bb.454:                              ;   in Loop: Header=BB1_84 Depth=1
	s_add_u32 s8, s36, 0x1000
	s_addc_u32 s9, s37, 0
	s_mov_b64 s[4:5], s[38:39]
	s_mov_b64 s[10:11], s[34:35]
	s_mov_b32 s12, s45
	s_mov_b32 s13, s44
	;; [unrolled: 1-line block ×3, first 2 shown]
	v_mov_b32_e32 v31, v40
	s_getpc_b64 s[0:1]
	s_add_u32 s0, s0, _Z53ncclDevFunc_ReduceScatter_RING_LL_PreMulSum_u64_0_0_2v@rel32@lo+4
	s_addc_u32 s1, s1, _Z53ncclDevFunc_ReduceScatter_RING_LL_PreMulSum_u64_0_0_2v@rel32@hi+12
	s_swappc_b64 s[30:31], s[0:1]
.LBB1_455:                              ;   in Loop: Header=BB1_84 Depth=1
	s_mov_b64 s[0:1], 0
.LBB1_456:                              ;   in Loop: Header=BB1_84 Depth=1
	s_andn2_b64 vcc, exec, s[0:1]
	s_cbranch_vccnz .LBB1_458
; %bb.457:                              ;   in Loop: Header=BB1_84 Depth=1
	s_add_u32 s8, s36, 0x1000
	s_addc_u32 s9, s37, 0
	s_mov_b64 s[4:5], s[38:39]
	s_mov_b64 s[10:11], s[34:35]
	s_mov_b32 s12, s45
	s_mov_b32 s13, s44
	;; [unrolled: 1-line block ×3, first 2 shown]
	v_mov_b32_e32 v31, v40
	s_getpc_b64 s[0:1]
	s_add_u32 s0, s0, _Z53ncclDevFunc_ReduceScatter_RING_LL_PreMulSum_u32_0_0_2v@rel32@lo+4
	s_addc_u32 s1, s1, _Z53ncclDevFunc_ReduceScatter_RING_LL_PreMulSum_u32_0_0_2v@rel32@hi+12
	s_swappc_b64 s[30:31], s[0:1]
.LBB1_458:                              ;   in Loop: Header=BB1_84 Depth=1
	s_mov_b64 s[0:1], 0
.LBB1_459:                              ;   in Loop: Header=BB1_84 Depth=1
	s_and_b64 vcc, exec, s[0:1]
	s_cbranch_vccz .LBB1_468
; %bb.460:                              ;   in Loop: Header=BB1_84 Depth=1
	v_cmp_lt_i16_e32 vcc, s55, v90
	s_mov_b64 s[0:1], -1
	s_cbranch_vccnz .LBB1_466
; %bb.461:                              ;   in Loop: Header=BB1_84 Depth=1
	v_cmp_ne_u16_e32 vcc, s55, v90
	s_cbranch_vccz .LBB1_463
; %bb.462:                              ;   in Loop: Header=BB1_84 Depth=1
	s_add_u32 s8, s36, 0x1000
	s_addc_u32 s9, s37, 0
	s_mov_b64 s[4:5], s[38:39]
	s_mov_b64 s[10:11], s[34:35]
	s_mov_b32 s12, s45
	s_mov_b32 s13, s44
	;; [unrolled: 1-line block ×3, first 2 shown]
	v_mov_b32_e32 v31, v40
	s_getpc_b64 s[0:1]
	s_add_u32 s0, s0, _Z52ncclDevFunc_ReduceScatter_RING_LL_PreMulSum_u8_0_0_2v@rel32@lo+4
	s_addc_u32 s1, s1, _Z52ncclDevFunc_ReduceScatter_RING_LL_PreMulSum_u8_0_0_2v@rel32@hi+12
	s_swappc_b64 s[30:31], s[0:1]
	s_mov_b64 s[0:1], 0
.LBB1_463:                              ;   in Loop: Header=BB1_84 Depth=1
	s_andn2_b64 vcc, exec, s[0:1]
	s_cbranch_vccnz .LBB1_465
; %bb.464:                              ;   in Loop: Header=BB1_84 Depth=1
	s_add_u32 s8, s36, 0x1000
	s_addc_u32 s9, s37, 0
	s_mov_b64 s[4:5], s[38:39]
	s_mov_b64 s[10:11], s[34:35]
	s_mov_b32 s12, s45
	s_mov_b32 s13, s44
	;; [unrolled: 1-line block ×3, first 2 shown]
	v_mov_b32_e32 v31, v40
	s_getpc_b64 s[0:1]
	s_add_u32 s0, s0, _Z53ncclDevFunc_ReduceScatter_RING_LL_MinMax_f8e5m2_0_0_2v@rel32@lo+4
	s_addc_u32 s1, s1, _Z53ncclDevFunc_ReduceScatter_RING_LL_MinMax_f8e5m2_0_0_2v@rel32@hi+12
	s_swappc_b64 s[30:31], s[0:1]
.LBB1_465:                              ;   in Loop: Header=BB1_84 Depth=1
	s_mov_b64 s[0:1], 0
.LBB1_466:                              ;   in Loop: Header=BB1_84 Depth=1
	s_andn2_b64 vcc, exec, s[0:1]
	s_cbranch_vccnz .LBB1_468
; %bb.467:                              ;   in Loop: Header=BB1_84 Depth=1
	s_add_u32 s8, s36, 0x1000
	s_addc_u32 s9, s37, 0
	s_mov_b64 s[4:5], s[38:39]
	s_mov_b64 s[10:11], s[34:35]
	s_mov_b32 s12, s45
	s_mov_b32 s13, s44
	;; [unrolled: 1-line block ×3, first 2 shown]
	v_mov_b32_e32 v31, v40
	s_getpc_b64 s[0:1]
	s_add_u32 s0, s0, _Z53ncclDevFunc_ReduceScatter_RING_LL_MinMax_f8e4m3_0_0_2v@rel32@lo+4
	s_addc_u32 s1, s1, _Z53ncclDevFunc_ReduceScatter_RING_LL_MinMax_f8e4m3_0_0_2v@rel32@hi+12
	s_swappc_b64 s[30:31], s[0:1]
.LBB1_468:                              ;   in Loop: Header=BB1_84 Depth=1
	s_mov_b64 s[0:1], 0
.LBB1_469:                              ;   in Loop: Header=BB1_84 Depth=1
	s_andn2_b64 vcc, exec, s[0:1]
	s_cbranch_vccnz .LBB1_507
; %bb.470:                              ;   in Loop: Header=BB1_84 Depth=1
	s_cmpk_gt_u32 s55, 0x46
	s_mov_b64 s[0:1], -1
	s_cbranch_scc0 .LBB1_491
; %bb.471:                              ;   in Loop: Header=BB1_84 Depth=1
	s_cmpk_gt_u32 s55, 0x49
	s_cbranch_scc0 .LBB1_481
; %bb.472:                              ;   in Loop: Header=BB1_84 Depth=1
	v_cmp_lt_i16_e32 vcc, s55, v91
	s_cbranch_vccnz .LBB1_478
; %bb.473:                              ;   in Loop: Header=BB1_84 Depth=1
	v_cmp_ne_u16_e32 vcc, s55, v91
	s_cbranch_vccz .LBB1_475
; %bb.474:                              ;   in Loop: Header=BB1_84 Depth=1
	s_add_u32 s8, s36, 0x1000
	s_addc_u32 s9, s37, 0
	s_mov_b64 s[4:5], s[38:39]
	s_mov_b64 s[10:11], s[34:35]
	s_mov_b32 s12, s45
	s_mov_b32 s13, s44
	;; [unrolled: 1-line block ×3, first 2 shown]
	v_mov_b32_e32 v31, v40
	s_getpc_b64 s[0:1]
	s_add_u32 s0, s0, _Z51ncclDevFunc_ReduceScatter_RING_LL_MinMax_bf16_0_0_2v@rel32@lo+4
	s_addc_u32 s1, s1, _Z51ncclDevFunc_ReduceScatter_RING_LL_MinMax_bf16_0_0_2v@rel32@hi+12
	s_swappc_b64 s[30:31], s[0:1]
	s_mov_b64 s[0:1], 0
.LBB1_475:                              ;   in Loop: Header=BB1_84 Depth=1
	s_andn2_b64 vcc, exec, s[0:1]
	s_cbranch_vccnz .LBB1_477
; %bb.476:                              ;   in Loop: Header=BB1_84 Depth=1
	s_add_u32 s8, s36, 0x1000
	s_addc_u32 s9, s37, 0
	s_mov_b64 s[4:5], s[38:39]
	s_mov_b64 s[10:11], s[34:35]
	s_mov_b32 s12, s45
	s_mov_b32 s13, s44
	;; [unrolled: 1-line block ×3, first 2 shown]
	v_mov_b32_e32 v31, v40
	s_getpc_b64 s[0:1]
	s_add_u32 s0, s0, _Z50ncclDevFunc_ReduceScatter_RING_LL_MinMax_f64_0_0_2v@rel32@lo+4
	s_addc_u32 s1, s1, _Z50ncclDevFunc_ReduceScatter_RING_LL_MinMax_f64_0_0_2v@rel32@hi+12
	s_swappc_b64 s[30:31], s[0:1]
.LBB1_477:                              ;   in Loop: Header=BB1_84 Depth=1
	s_mov_b64 s[0:1], 0
.LBB1_478:                              ;   in Loop: Header=BB1_84 Depth=1
	s_andn2_b64 vcc, exec, s[0:1]
	s_cbranch_vccnz .LBB1_480
; %bb.479:                              ;   in Loop: Header=BB1_84 Depth=1
	s_add_u32 s8, s36, 0x1000
	s_addc_u32 s9, s37, 0
	s_mov_b64 s[4:5], s[38:39]
	s_mov_b64 s[10:11], s[34:35]
	s_mov_b32 s12, s45
	s_mov_b32 s13, s44
	;; [unrolled: 1-line block ×3, first 2 shown]
	v_mov_b32_e32 v31, v40
	s_getpc_b64 s[0:1]
	s_add_u32 s0, s0, _Z50ncclDevFunc_ReduceScatter_RING_LL_MinMax_f32_0_0_2v@rel32@lo+4
	s_addc_u32 s1, s1, _Z50ncclDevFunc_ReduceScatter_RING_LL_MinMax_f32_0_0_2v@rel32@hi+12
	s_swappc_b64 s[30:31], s[0:1]
.LBB1_480:                              ;   in Loop: Header=BB1_84 Depth=1
	s_mov_b64 s[0:1], 0
.LBB1_481:                              ;   in Loop: Header=BB1_84 Depth=1
	s_and_b64 vcc, exec, s[0:1]
	s_cbranch_vccz .LBB1_490
; %bb.482:                              ;   in Loop: Header=BB1_84 Depth=1
	v_cmp_lt_i16_e32 vcc, s55, v92
	s_mov_b64 s[0:1], -1
	s_cbranch_vccnz .LBB1_488
; %bb.483:                              ;   in Loop: Header=BB1_84 Depth=1
	v_cmp_ne_u16_e32 vcc, s55, v92
	s_cbranch_vccz .LBB1_485
; %bb.484:                              ;   in Loop: Header=BB1_84 Depth=1
	s_add_u32 s8, s36, 0x1000
	s_addc_u32 s9, s37, 0
	s_mov_b64 s[4:5], s[38:39]
	s_mov_b64 s[10:11], s[34:35]
	s_mov_b32 s12, s45
	s_mov_b32 s13, s44
	;; [unrolled: 1-line block ×3, first 2 shown]
	v_mov_b32_e32 v31, v40
	s_getpc_b64 s[0:1]
	s_add_u32 s0, s0, _Z50ncclDevFunc_ReduceScatter_RING_LL_MinMax_f16_0_0_2v@rel32@lo+4
	s_addc_u32 s1, s1, _Z50ncclDevFunc_ReduceScatter_RING_LL_MinMax_f16_0_0_2v@rel32@hi+12
	s_swappc_b64 s[30:31], s[0:1]
	s_mov_b64 s[0:1], 0
.LBB1_485:                              ;   in Loop: Header=BB1_84 Depth=1
	s_andn2_b64 vcc, exec, s[0:1]
	s_cbranch_vccnz .LBB1_487
; %bb.486:                              ;   in Loop: Header=BB1_84 Depth=1
	s_add_u32 s8, s36, 0x1000
	s_addc_u32 s9, s37, 0
	s_mov_b64 s[4:5], s[38:39]
	s_mov_b64 s[10:11], s[34:35]
	s_mov_b32 s12, s45
	s_mov_b32 s13, s44
	;; [unrolled: 1-line block ×3, first 2 shown]
	v_mov_b32_e32 v31, v40
	s_getpc_b64 s[0:1]
	s_add_u32 s0, s0, _Z50ncclDevFunc_ReduceScatter_RING_LL_MinMax_u64_0_0_2v@rel32@lo+4
	s_addc_u32 s1, s1, _Z50ncclDevFunc_ReduceScatter_RING_LL_MinMax_u64_0_0_2v@rel32@hi+12
	s_swappc_b64 s[30:31], s[0:1]
.LBB1_487:                              ;   in Loop: Header=BB1_84 Depth=1
	s_mov_b64 s[0:1], 0
.LBB1_488:                              ;   in Loop: Header=BB1_84 Depth=1
	s_andn2_b64 vcc, exec, s[0:1]
	s_cbranch_vccnz .LBB1_490
; %bb.489:                              ;   in Loop: Header=BB1_84 Depth=1
	s_add_u32 s8, s36, 0x1000
	s_addc_u32 s9, s37, 0
	s_mov_b64 s[4:5], s[38:39]
	s_mov_b64 s[10:11], s[34:35]
	s_mov_b32 s12, s45
	s_mov_b32 s13, s44
	;; [unrolled: 1-line block ×3, first 2 shown]
	v_mov_b32_e32 v31, v40
	s_getpc_b64 s[0:1]
	s_add_u32 s0, s0, _Z50ncclDevFunc_ReduceScatter_RING_LL_MinMax_u32_0_0_2v@rel32@lo+4
	s_addc_u32 s1, s1, _Z50ncclDevFunc_ReduceScatter_RING_LL_MinMax_u32_0_0_2v@rel32@hi+12
	s_swappc_b64 s[30:31], s[0:1]
.LBB1_490:                              ;   in Loop: Header=BB1_84 Depth=1
	s_mov_b64 s[0:1], 0
.LBB1_491:                              ;   in Loop: Header=BB1_84 Depth=1
	s_andn2_b64 vcc, exec, s[0:1]
	s_cbranch_vccnz .LBB1_507
; %bb.492:                              ;   in Loop: Header=BB1_84 Depth=1
	s_cmpk_gt_u32 s55, 0x43
	s_mov_b64 s[0:1], -1
	s_cbranch_scc0 .LBB1_502
; %bb.493:                              ;   in Loop: Header=BB1_84 Depth=1
	v_cmp_lt_i16_e32 vcc, s55, v93
	s_cbranch_vccnz .LBB1_499
; %bb.494:                              ;   in Loop: Header=BB1_84 Depth=1
	v_cmp_ne_u16_e32 vcc, s55, v93
	s_cbranch_vccz .LBB1_496
; %bb.495:                              ;   in Loop: Header=BB1_84 Depth=1
	s_add_u32 s8, s36, 0x1000
	s_addc_u32 s9, s37, 0
	s_mov_b64 s[4:5], s[38:39]
	s_mov_b64 s[10:11], s[34:35]
	s_mov_b32 s12, s45
	s_mov_b32 s13, s44
	;; [unrolled: 1-line block ×3, first 2 shown]
	v_mov_b32_e32 v31, v40
	s_getpc_b64 s[0:1]
	s_add_u32 s0, s0, _Z49ncclDevFunc_ReduceScatter_RING_LL_MinMax_u8_0_0_2v@rel32@lo+4
	s_addc_u32 s1, s1, _Z49ncclDevFunc_ReduceScatter_RING_LL_MinMax_u8_0_0_2v@rel32@hi+12
	s_swappc_b64 s[30:31], s[0:1]
	s_mov_b64 s[0:1], 0
.LBB1_496:                              ;   in Loop: Header=BB1_84 Depth=1
	s_andn2_b64 vcc, exec, s[0:1]
	s_cbranch_vccnz .LBB1_498
; %bb.497:                              ;   in Loop: Header=BB1_84 Depth=1
	s_add_u32 s8, s36, 0x1000
	s_addc_u32 s9, s37, 0
	s_mov_b64 s[4:5], s[38:39]
	s_mov_b64 s[10:11], s[34:35]
	s_mov_b32 s12, s45
	s_mov_b32 s13, s44
	;; [unrolled: 1-line block ×3, first 2 shown]
	v_mov_b32_e32 v31, v40
	s_getpc_b64 s[0:1]
	s_add_u32 s0, s0, _Z51ncclDevFunc_ReduceScatter_RING_LL_Prod_f8e5m2_0_0_2v@rel32@lo+4
	s_addc_u32 s1, s1, _Z51ncclDevFunc_ReduceScatter_RING_LL_Prod_f8e5m2_0_0_2v@rel32@hi+12
	s_swappc_b64 s[30:31], s[0:1]
.LBB1_498:                              ;   in Loop: Header=BB1_84 Depth=1
	s_mov_b64 s[0:1], 0
.LBB1_499:                              ;   in Loop: Header=BB1_84 Depth=1
	s_andn2_b64 vcc, exec, s[0:1]
	s_cbranch_vccnz .LBB1_501
; %bb.500:                              ;   in Loop: Header=BB1_84 Depth=1
	s_add_u32 s8, s36, 0x1000
	s_addc_u32 s9, s37, 0
	s_mov_b64 s[4:5], s[38:39]
	s_mov_b64 s[10:11], s[34:35]
	s_mov_b32 s12, s45
	s_mov_b32 s13, s44
	;; [unrolled: 1-line block ×3, first 2 shown]
	v_mov_b32_e32 v31, v40
	s_getpc_b64 s[0:1]
	s_add_u32 s0, s0, _Z51ncclDevFunc_ReduceScatter_RING_LL_Prod_f8e4m3_0_0_2v@rel32@lo+4
	s_addc_u32 s1, s1, _Z51ncclDevFunc_ReduceScatter_RING_LL_Prod_f8e4m3_0_0_2v@rel32@hi+12
	s_swappc_b64 s[30:31], s[0:1]
.LBB1_501:                              ;   in Loop: Header=BB1_84 Depth=1
	s_mov_b64 s[0:1], 0
.LBB1_502:                              ;   in Loop: Header=BB1_84 Depth=1
	s_and_b64 vcc, exec, s[0:1]
	s_cbranch_vccz .LBB1_507
; %bb.503:                              ;   in Loop: Header=BB1_84 Depth=1
	s_cmpk_eq_i32 s55, 0x43
	s_mov_b64 s[0:1], -1
	s_cbranch_scc1 .LBB1_505
; %bb.504:                              ;   in Loop: Header=BB1_84 Depth=1
	s_add_u32 s8, s36, 0x1000
	s_addc_u32 s9, s37, 0
	s_mov_b64 s[4:5], s[38:39]
	s_mov_b64 s[10:11], s[34:35]
	s_mov_b32 s12, s45
	s_mov_b32 s13, s44
	;; [unrolled: 1-line block ×3, first 2 shown]
	v_mov_b32_e32 v31, v40
	s_getpc_b64 s[0:1]
	s_add_u32 s0, s0, _Z48ncclDevFunc_ReduceScatter_RING_LL_Prod_f64_0_0_2v@rel32@lo+4
	s_addc_u32 s1, s1, _Z48ncclDevFunc_ReduceScatter_RING_LL_Prod_f64_0_0_2v@rel32@hi+12
	s_swappc_b64 s[30:31], s[0:1]
	s_mov_b64 s[0:1], 0
.LBB1_505:                              ;   in Loop: Header=BB1_84 Depth=1
	s_andn2_b64 vcc, exec, s[0:1]
	s_cbranch_vccnz .LBB1_507
; %bb.506:                              ;   in Loop: Header=BB1_84 Depth=1
	s_add_u32 s8, s36, 0x1000
	s_addc_u32 s9, s37, 0
	s_mov_b64 s[4:5], s[38:39]
	s_mov_b64 s[10:11], s[34:35]
	s_mov_b32 s12, s45
	s_mov_b32 s13, s44
	;; [unrolled: 1-line block ×3, first 2 shown]
	v_mov_b32_e32 v31, v40
	s_getpc_b64 s[0:1]
	s_add_u32 s0, s0, _Z49ncclDevFunc_ReduceScatter_RING_LL_Prod_bf16_0_0_2v@rel32@lo+4
	s_addc_u32 s1, s1, _Z49ncclDevFunc_ReduceScatter_RING_LL_Prod_bf16_0_0_2v@rel32@hi+12
	s_swappc_b64 s[30:31], s[0:1]
.LBB1_507:                              ;   in Loop: Header=BB1_84 Depth=1
	s_mov_b64 s[0:1], 0
.LBB1_508:                              ;   in Loop: Header=BB1_84 Depth=1
	s_andn2_b64 vcc, exec, s[0:1]
	s_cbranch_vccnz .LBB1_578
; %bb.509:                              ;   in Loop: Header=BB1_84 Depth=1
	s_cmp_gt_u32 s55, 54
	s_mov_b64 s[0:1], -1
	s_cbranch_scc0 .LBB1_548
; %bb.510:                              ;   in Loop: Header=BB1_84 Depth=1
	s_cmp_gt_u32 s55, 59
	s_cbranch_scc0 .LBB1_531
; %bb.511:                              ;   in Loop: Header=BB1_84 Depth=1
	s_cmp_gt_u32 s55, 62
	s_cbranch_scc0 .LBB1_521
; %bb.512:                              ;   in Loop: Header=BB1_84 Depth=1
	v_cmp_lt_i16_e64 s[2:3], s55, 64
	s_and_b64 vcc, exec, s[2:3]
	s_cbranch_vccnz .LBB1_518
; %bb.513:                              ;   in Loop: Header=BB1_84 Depth=1
	v_cmp_ne_u16_e64 s[2:3], s55, 64
	s_and_b64 vcc, exec, s[2:3]
	s_cbranch_vccz .LBB1_515
; %bb.514:                              ;   in Loop: Header=BB1_84 Depth=1
	s_add_u32 s8, s36, 0x1000
	s_addc_u32 s9, s37, 0
	s_mov_b64 s[4:5], s[38:39]
	s_mov_b64 s[10:11], s[34:35]
	s_mov_b32 s12, s45
	s_mov_b32 s13, s44
	;; [unrolled: 1-line block ×3, first 2 shown]
	v_mov_b32_e32 v31, v40
	s_getpc_b64 s[0:1]
	s_add_u32 s0, s0, _Z48ncclDevFunc_ReduceScatter_RING_LL_Prod_f32_0_0_2v@rel32@lo+4
	s_addc_u32 s1, s1, _Z48ncclDevFunc_ReduceScatter_RING_LL_Prod_f32_0_0_2v@rel32@hi+12
	s_swappc_b64 s[30:31], s[0:1]
	s_mov_b64 s[0:1], 0
.LBB1_515:                              ;   in Loop: Header=BB1_84 Depth=1
	s_andn2_b64 vcc, exec, s[0:1]
	s_cbranch_vccnz .LBB1_517
; %bb.516:                              ;   in Loop: Header=BB1_84 Depth=1
	s_add_u32 s8, s36, 0x1000
	s_addc_u32 s9, s37, 0
	s_mov_b64 s[4:5], s[38:39]
	s_mov_b64 s[10:11], s[34:35]
	s_mov_b32 s12, s45
	s_mov_b32 s13, s44
	;; [unrolled: 1-line block ×3, first 2 shown]
	v_mov_b32_e32 v31, v40
	s_getpc_b64 s[0:1]
	s_add_u32 s0, s0, _Z48ncclDevFunc_ReduceScatter_RING_LL_Prod_f16_0_0_2v@rel32@lo+4
	s_addc_u32 s1, s1, _Z48ncclDevFunc_ReduceScatter_RING_LL_Prod_f16_0_0_2v@rel32@hi+12
	s_swappc_b64 s[30:31], s[0:1]
.LBB1_517:                              ;   in Loop: Header=BB1_84 Depth=1
	s_mov_b64 s[0:1], 0
.LBB1_518:                              ;   in Loop: Header=BB1_84 Depth=1
	s_andn2_b64 vcc, exec, s[0:1]
	s_cbranch_vccnz .LBB1_520
; %bb.519:                              ;   in Loop: Header=BB1_84 Depth=1
	s_add_u32 s8, s36, 0x1000
	s_addc_u32 s9, s37, 0
	s_mov_b64 s[4:5], s[38:39]
	s_mov_b64 s[10:11], s[34:35]
	s_mov_b32 s12, s45
	s_mov_b32 s13, s44
	;; [unrolled: 1-line block ×3, first 2 shown]
	v_mov_b32_e32 v31, v40
	s_getpc_b64 s[0:1]
	s_add_u32 s0, s0, _Z48ncclDevFunc_ReduceScatter_RING_LL_Prod_u64_0_0_2v@rel32@lo+4
	s_addc_u32 s1, s1, _Z48ncclDevFunc_ReduceScatter_RING_LL_Prod_u64_0_0_2v@rel32@hi+12
	s_swappc_b64 s[30:31], s[0:1]
.LBB1_520:                              ;   in Loop: Header=BB1_84 Depth=1
	s_mov_b64 s[0:1], 0
.LBB1_521:                              ;   in Loop: Header=BB1_84 Depth=1
	s_and_b64 vcc, exec, s[0:1]
	s_cbranch_vccz .LBB1_530
; %bb.522:                              ;   in Loop: Header=BB1_84 Depth=1
	v_cmp_lt_i16_e64 s[2:3], s55, 61
	s_mov_b64 s[0:1], -1
	s_and_b64 vcc, exec, s[2:3]
	s_cbranch_vccnz .LBB1_528
; %bb.523:                              ;   in Loop: Header=BB1_84 Depth=1
	v_cmp_ne_u16_e64 s[2:3], s55, 61
	s_and_b64 vcc, exec, s[2:3]
	s_cbranch_vccz .LBB1_525
; %bb.524:                              ;   in Loop: Header=BB1_84 Depth=1
	s_add_u32 s8, s36, 0x1000
	s_addc_u32 s9, s37, 0
	s_mov_b64 s[4:5], s[38:39]
	s_mov_b64 s[10:11], s[34:35]
	s_mov_b32 s12, s45
	s_mov_b32 s13, s44
	;; [unrolled: 1-line block ×3, first 2 shown]
	v_mov_b32_e32 v31, v40
	s_getpc_b64 s[0:1]
	s_add_u32 s0, s0, _Z48ncclDevFunc_ReduceScatter_RING_LL_Prod_u32_0_0_2v@rel32@lo+4
	s_addc_u32 s1, s1, _Z48ncclDevFunc_ReduceScatter_RING_LL_Prod_u32_0_0_2v@rel32@hi+12
	s_swappc_b64 s[30:31], s[0:1]
	s_mov_b64 s[0:1], 0
.LBB1_525:                              ;   in Loop: Header=BB1_84 Depth=1
	s_andn2_b64 vcc, exec, s[0:1]
	s_cbranch_vccnz .LBB1_527
; %bb.526:                              ;   in Loop: Header=BB1_84 Depth=1
	s_add_u32 s8, s36, 0x1000
	s_addc_u32 s9, s37, 0
	s_mov_b64 s[4:5], s[38:39]
	s_mov_b64 s[10:11], s[34:35]
	s_mov_b32 s12, s45
	s_mov_b32 s13, s44
	;; [unrolled: 1-line block ×3, first 2 shown]
	v_mov_b32_e32 v31, v40
	s_getpc_b64 s[0:1]
	s_add_u32 s0, s0, _Z47ncclDevFunc_ReduceScatter_RING_LL_Prod_u8_0_0_2v@rel32@lo+4
	s_addc_u32 s1, s1, _Z47ncclDevFunc_ReduceScatter_RING_LL_Prod_u8_0_0_2v@rel32@hi+12
	s_swappc_b64 s[30:31], s[0:1]
.LBB1_527:                              ;   in Loop: Header=BB1_84 Depth=1
	s_mov_b64 s[0:1], 0
.LBB1_528:                              ;   in Loop: Header=BB1_84 Depth=1
	s_andn2_b64 vcc, exec, s[0:1]
	s_cbranch_vccnz .LBB1_530
; %bb.529:                              ;   in Loop: Header=BB1_84 Depth=1
	s_add_u32 s8, s36, 0x1000
	s_addc_u32 s9, s37, 0
	s_mov_b64 s[4:5], s[38:39]
	s_mov_b64 s[10:11], s[34:35]
	s_mov_b32 s12, s45
	s_mov_b32 s13, s44
	;; [unrolled: 1-line block ×3, first 2 shown]
	v_mov_b32_e32 v31, v40
	s_getpc_b64 s[0:1]
	s_add_u32 s0, s0, _Z50ncclDevFunc_ReduceScatter_RING_LL_Sum_f8e5m2_0_0_2v@rel32@lo+4
	s_addc_u32 s1, s1, _Z50ncclDevFunc_ReduceScatter_RING_LL_Sum_f8e5m2_0_0_2v@rel32@hi+12
	s_swappc_b64 s[30:31], s[0:1]
.LBB1_530:                              ;   in Loop: Header=BB1_84 Depth=1
	s_mov_b64 s[0:1], 0
.LBB1_531:                              ;   in Loop: Header=BB1_84 Depth=1
	s_andn2_b64 vcc, exec, s[0:1]
	s_cbranch_vccnz .LBB1_547
; %bb.532:                              ;   in Loop: Header=BB1_84 Depth=1
	s_cmp_gt_u32 s55, 56
	s_mov_b64 s[0:1], -1
	s_cbranch_scc0 .LBB1_542
; %bb.533:                              ;   in Loop: Header=BB1_84 Depth=1
	v_cmp_lt_i16_e64 s[2:3], s55, 58
	s_and_b64 vcc, exec, s[2:3]
	s_cbranch_vccnz .LBB1_539
; %bb.534:                              ;   in Loop: Header=BB1_84 Depth=1
	v_cmp_ne_u16_e64 s[2:3], s55, 58
	s_and_b64 vcc, exec, s[2:3]
	s_cbranch_vccz .LBB1_536
; %bb.535:                              ;   in Loop: Header=BB1_84 Depth=1
	s_add_u32 s8, s36, 0x1000
	s_addc_u32 s9, s37, 0
	s_mov_b64 s[4:5], s[38:39]
	s_mov_b64 s[10:11], s[34:35]
	s_mov_b32 s12, s45
	s_mov_b32 s13, s44
	;; [unrolled: 1-line block ×3, first 2 shown]
	v_mov_b32_e32 v31, v40
	s_getpc_b64 s[0:1]
	s_add_u32 s0, s0, _Z50ncclDevFunc_ReduceScatter_RING_LL_Sum_f8e4m3_0_0_2v@rel32@lo+4
	s_addc_u32 s1, s1, _Z50ncclDevFunc_ReduceScatter_RING_LL_Sum_f8e4m3_0_0_2v@rel32@hi+12
	s_swappc_b64 s[30:31], s[0:1]
	s_mov_b64 s[0:1], 0
.LBB1_536:                              ;   in Loop: Header=BB1_84 Depth=1
	s_andn2_b64 vcc, exec, s[0:1]
	s_cbranch_vccnz .LBB1_538
; %bb.537:                              ;   in Loop: Header=BB1_84 Depth=1
	s_add_u32 s8, s36, 0x1000
	s_addc_u32 s9, s37, 0
	s_mov_b64 s[4:5], s[38:39]
	s_mov_b64 s[10:11], s[34:35]
	s_mov_b32 s12, s45
	s_mov_b32 s13, s44
	;; [unrolled: 1-line block ×3, first 2 shown]
	v_mov_b32_e32 v31, v40
	s_getpc_b64 s[0:1]
	s_add_u32 s0, s0, _Z48ncclDevFunc_ReduceScatter_RING_LL_Sum_bf16_0_0_2v@rel32@lo+4
	s_addc_u32 s1, s1, _Z48ncclDevFunc_ReduceScatter_RING_LL_Sum_bf16_0_0_2v@rel32@hi+12
	s_swappc_b64 s[30:31], s[0:1]
.LBB1_538:                              ;   in Loop: Header=BB1_84 Depth=1
	s_mov_b64 s[0:1], 0
.LBB1_539:                              ;   in Loop: Header=BB1_84 Depth=1
	s_andn2_b64 vcc, exec, s[0:1]
	s_cbranch_vccnz .LBB1_541
; %bb.540:                              ;   in Loop: Header=BB1_84 Depth=1
	s_add_u32 s8, s36, 0x1000
	s_addc_u32 s9, s37, 0
	s_mov_b64 s[4:5], s[38:39]
	s_mov_b64 s[10:11], s[34:35]
	s_mov_b32 s12, s45
	s_mov_b32 s13, s44
	;; [unrolled: 1-line block ×3, first 2 shown]
	v_mov_b32_e32 v31, v40
	s_getpc_b64 s[0:1]
	s_add_u32 s0, s0, _Z47ncclDevFunc_ReduceScatter_RING_LL_Sum_f64_0_0_2v@rel32@lo+4
	s_addc_u32 s1, s1, _Z47ncclDevFunc_ReduceScatter_RING_LL_Sum_f64_0_0_2v@rel32@hi+12
	s_swappc_b64 s[30:31], s[0:1]
.LBB1_541:                              ;   in Loop: Header=BB1_84 Depth=1
	s_mov_b64 s[0:1], 0
.LBB1_542:                              ;   in Loop: Header=BB1_84 Depth=1
	s_and_b64 vcc, exec, s[0:1]
	s_cbranch_vccz .LBB1_547
; %bb.543:                              ;   in Loop: Header=BB1_84 Depth=1
	s_cmp_eq_u32 s55, 56
	s_mov_b64 s[0:1], -1
	s_cbranch_scc1 .LBB1_545
; %bb.544:                              ;   in Loop: Header=BB1_84 Depth=1
	s_add_u32 s8, s36, 0x1000
	s_addc_u32 s9, s37, 0
	s_mov_b64 s[4:5], s[38:39]
	s_mov_b64 s[10:11], s[34:35]
	s_mov_b32 s12, s45
	s_mov_b32 s13, s44
	;; [unrolled: 1-line block ×3, first 2 shown]
	v_mov_b32_e32 v31, v40
	s_getpc_b64 s[0:1]
	s_add_u32 s0, s0, _Z47ncclDevFunc_ReduceScatter_RING_LL_Sum_f16_0_0_2v@rel32@lo+4
	s_addc_u32 s1, s1, _Z47ncclDevFunc_ReduceScatter_RING_LL_Sum_f16_0_0_2v@rel32@hi+12
	s_swappc_b64 s[30:31], s[0:1]
	s_mov_b64 s[0:1], 0
.LBB1_545:                              ;   in Loop: Header=BB1_84 Depth=1
	s_andn2_b64 vcc, exec, s[0:1]
	s_cbranch_vccnz .LBB1_547
; %bb.546:                              ;   in Loop: Header=BB1_84 Depth=1
	s_add_u32 s8, s36, 0x1000
	s_addc_u32 s9, s37, 0
	s_mov_b64 s[4:5], s[38:39]
	s_mov_b64 s[10:11], s[34:35]
	s_mov_b32 s12, s45
	s_mov_b32 s13, s44
	;; [unrolled: 1-line block ×3, first 2 shown]
	v_mov_b32_e32 v31, v40
	s_getpc_b64 s[0:1]
	s_add_u32 s0, s0, _Z47ncclDevFunc_ReduceScatter_RING_LL_Sum_f32_0_0_2v@rel32@lo+4
	s_addc_u32 s1, s1, _Z47ncclDevFunc_ReduceScatter_RING_LL_Sum_f32_0_0_2v@rel32@hi+12
	s_swappc_b64 s[30:31], s[0:1]
.LBB1_547:                              ;   in Loop: Header=BB1_84 Depth=1
	s_mov_b64 s[0:1], 0
.LBB1_548:                              ;   in Loop: Header=BB1_84 Depth=1
	s_andn2_b64 vcc, exec, s[0:1]
	s_cbranch_vccnz .LBB1_578
; %bb.549:                              ;   in Loop: Header=BB1_84 Depth=1
	s_cmp_gt_u32 s55, 48
	s_mov_b64 s[0:1], -1
	s_cbranch_scc0 .LBB1_566
; %bb.550:                              ;   in Loop: Header=BB1_84 Depth=1
	s_cmp_gt_u32 s55, 51
	s_cbranch_scc0 .LBB1_560
; %bb.551:                              ;   in Loop: Header=BB1_84 Depth=1
	v_cmp_lt_i16_e64 s[2:3], s55, 53
	s_and_b64 vcc, exec, s[2:3]
	s_cbranch_vccnz .LBB1_557
; %bb.552:                              ;   in Loop: Header=BB1_84 Depth=1
	v_cmp_ne_u16_e64 s[2:3], s55, 53
	s_and_b64 vcc, exec, s[2:3]
	s_cbranch_vccz .LBB1_554
; %bb.553:                              ;   in Loop: Header=BB1_84 Depth=1
	s_add_u32 s8, s36, 0x1000
	s_addc_u32 s9, s37, 0
	s_mov_b64 s[4:5], s[38:39]
	s_mov_b64 s[10:11], s[34:35]
	s_mov_b32 s12, s45
	s_mov_b32 s13, s44
	;; [unrolled: 1-line block ×3, first 2 shown]
	v_mov_b32_e32 v31, v40
	s_getpc_b64 s[0:1]
	s_add_u32 s0, s0, _Z47ncclDevFunc_ReduceScatter_RING_LL_Sum_u64_0_0_2v@rel32@lo+4
	s_addc_u32 s1, s1, _Z47ncclDevFunc_ReduceScatter_RING_LL_Sum_u64_0_0_2v@rel32@hi+12
	s_swappc_b64 s[30:31], s[0:1]
	s_mov_b64 s[0:1], 0
.LBB1_554:                              ;   in Loop: Header=BB1_84 Depth=1
	s_andn2_b64 vcc, exec, s[0:1]
	s_cbranch_vccnz .LBB1_556
; %bb.555:                              ;   in Loop: Header=BB1_84 Depth=1
	s_add_u32 s8, s36, 0x1000
	s_addc_u32 s9, s37, 0
	s_mov_b64 s[4:5], s[38:39]
	s_mov_b64 s[10:11], s[34:35]
	s_mov_b32 s12, s45
	s_mov_b32 s13, s44
	;; [unrolled: 1-line block ×3, first 2 shown]
	v_mov_b32_e32 v31, v40
	s_getpc_b64 s[0:1]
	s_add_u32 s0, s0, _Z47ncclDevFunc_ReduceScatter_RING_LL_Sum_u32_0_0_2v@rel32@lo+4
	s_addc_u32 s1, s1, _Z47ncclDevFunc_ReduceScatter_RING_LL_Sum_u32_0_0_2v@rel32@hi+12
	s_swappc_b64 s[30:31], s[0:1]
.LBB1_556:                              ;   in Loop: Header=BB1_84 Depth=1
	s_mov_b64 s[0:1], 0
.LBB1_557:                              ;   in Loop: Header=BB1_84 Depth=1
	s_andn2_b64 vcc, exec, s[0:1]
	s_cbranch_vccnz .LBB1_559
; %bb.558:                              ;   in Loop: Header=BB1_84 Depth=1
	s_add_u32 s8, s36, 0x1000
	s_addc_u32 s9, s37, 0
	s_mov_b64 s[4:5], s[38:39]
	s_mov_b64 s[10:11], s[34:35]
	s_mov_b32 s12, s45
	s_mov_b32 s13, s44
	;; [unrolled: 1-line block ×3, first 2 shown]
	v_mov_b32_e32 v31, v40
	s_getpc_b64 s[0:1]
	s_add_u32 s0, s0, _Z46ncclDevFunc_ReduceScatter_RING_LL_Sum_u8_0_0_2v@rel32@lo+4
	s_addc_u32 s1, s1, _Z46ncclDevFunc_ReduceScatter_RING_LL_Sum_u8_0_0_2v@rel32@hi+12
	s_swappc_b64 s[30:31], s[0:1]
.LBB1_559:                              ;   in Loop: Header=BB1_84 Depth=1
	s_mov_b64 s[0:1], 0
.LBB1_560:                              ;   in Loop: Header=BB1_84 Depth=1
	s_and_b64 vcc, exec, s[0:1]
	s_cbranch_vccz .LBB1_565
; %bb.561:                              ;   in Loop: Header=BB1_84 Depth=1
	s_cmp_lg_u32 s55, 49
	s_mov_b64 s[0:1], -1
	s_cbranch_scc0 .LBB1_563
; %bb.562:                              ;   in Loop: Header=BB1_84 Depth=1
	s_add_u32 s8, s36, 0x1000
	s_addc_u32 s9, s37, 0
	s_mov_b64 s[4:5], s[38:39]
	s_mov_b64 s[10:11], s[34:35]
	s_mov_b32 s12, s45
	s_mov_b32 s13, s44
	;; [unrolled: 1-line block ×3, first 2 shown]
	v_mov_b32_e32 v31, v40
	s_getpc_b64 s[0:1]
	s_add_u32 s0, s0, _Z45ncclDevFunc_AllGather_PAT_SIMPLE_Sum_i8_0_0_2v@rel32@lo+4
	s_addc_u32 s1, s1, _Z45ncclDevFunc_AllGather_PAT_SIMPLE_Sum_i8_0_0_2v@rel32@hi+12
	s_swappc_b64 s[30:31], s[0:1]
	s_mov_b64 s[0:1], 0
.LBB1_563:                              ;   in Loop: Header=BB1_84 Depth=1
	s_andn2_b64 vcc, exec, s[0:1]
	s_cbranch_vccnz .LBB1_565
; %bb.564:                              ;   in Loop: Header=BB1_84 Depth=1
	s_add_u32 s8, s36, 0x1000
	s_addc_u32 s9, s37, 0
	s_mov_b64 s[4:5], s[38:39]
	s_mov_b64 s[10:11], s[34:35]
	s_mov_b32 s12, s45
	s_mov_b32 s13, s44
	;; [unrolled: 1-line block ×3, first 2 shown]
	v_mov_b32_e32 v31, v40
	s_getpc_b64 s[0:1]
	s_add_u32 s0, s0, _Z41ncclDevFunc_AllGather_PAT_LL_Sum_i8_0_0_2v@rel32@lo+4
	s_addc_u32 s1, s1, _Z41ncclDevFunc_AllGather_PAT_LL_Sum_i8_0_0_2v@rel32@hi+12
	s_swappc_b64 s[30:31], s[0:1]
.LBB1_565:                              ;   in Loop: Header=BB1_84 Depth=1
	s_mov_b64 s[0:1], 0
.LBB1_566:                              ;   in Loop: Header=BB1_84 Depth=1
	s_andn2_b64 vcc, exec, s[0:1]
	s_cbranch_vccnz .LBB1_578
; %bb.567:                              ;   in Loop: Header=BB1_84 Depth=1
	s_cmp_gt_u32 s55, 45
	s_mov_b64 s[0:1], -1
	s_cbranch_scc0 .LBB1_573
; %bb.568:                              ;   in Loop: Header=BB1_84 Depth=1
	s_cmp_lg_u32 s55, 46
	s_cbranch_scc0 .LBB1_570
; %bb.569:                              ;   in Loop: Header=BB1_84 Depth=1
	s_add_u32 s8, s36, 0x1000
	s_addc_u32 s9, s37, 0
	s_mov_b64 s[4:5], s[38:39]
	s_mov_b64 s[10:11], s[34:35]
	s_mov_b32 s12, s45
	s_mov_b32 s13, s44
	;; [unrolled: 1-line block ×3, first 2 shown]
	v_mov_b32_e32 v31, v40
	s_getpc_b64 s[0:1]
	s_add_u32 s0, s0, _Z46ncclDevFunc_AllGather_RING_SIMPLE_Sum_i8_0_0_2v@rel32@lo+4
	s_addc_u32 s1, s1, _Z46ncclDevFunc_AllGather_RING_SIMPLE_Sum_i8_0_0_2v@rel32@hi+12
	s_swappc_b64 s[30:31], s[0:1]
	s_mov_b64 s[0:1], 0
.LBB1_570:                              ;   in Loop: Header=BB1_84 Depth=1
	s_andn2_b64 vcc, exec, s[0:1]
	s_cbranch_vccnz .LBB1_572
; %bb.571:                              ;   in Loop: Header=BB1_84 Depth=1
	s_add_u32 s8, s36, 0x1000
	s_addc_u32 s9, s37, 0
	s_mov_b64 s[4:5], s[38:39]
	s_mov_b64 s[10:11], s[34:35]
	s_mov_b32 s12, s45
	s_mov_b32 s13, s44
	;; [unrolled: 1-line block ×3, first 2 shown]
	v_mov_b32_e32 v31, v40
	s_getpc_b64 s[0:1]
	s_add_u32 s0, s0, _Z42ncclDevFunc_AllGather_RING_LL_Sum_i8_0_0_2v@rel32@lo+4
	s_addc_u32 s1, s1, _Z42ncclDevFunc_AllGather_RING_LL_Sum_i8_0_0_2v@rel32@hi+12
	s_swappc_b64 s[30:31], s[0:1]
.LBB1_572:                              ;   in Loop: Header=BB1_84 Depth=1
	s_mov_b64 s[0:1], 0
.LBB1_573:                              ;   in Loop: Header=BB1_84 Depth=1
	s_andn2_b64 vcc, exec, s[0:1]
	s_cbranch_vccnz .LBB1_578
; %bb.574:                              ;   in Loop: Header=BB1_84 Depth=1
	s_cmp_eq_u32 s55, 45
	s_mov_b64 s[0:1], -1
	s_cbranch_scc1 .LBB1_576
; %bb.575:                              ;   in Loop: Header=BB1_84 Depth=1
	s_add_u32 s8, s36, 0x1000
	s_addc_u32 s9, s37, 0
	s_mov_b64 s[4:5], s[38:39]
	s_mov_b64 s[10:11], s[34:35]
	s_mov_b32 s12, s45
	s_mov_b32 s13, s44
	;; [unrolled: 1-line block ×3, first 2 shown]
	v_mov_b32_e32 v31, v40
	s_getpc_b64 s[0:1]
	s_add_u32 s0, s0, _Z51ncclDevFunc_Reduce_RING_SIMPLE_SumPostDiv_u32_0_0_2v@rel32@lo+4
	s_addc_u32 s1, s1, _Z51ncclDevFunc_Reduce_RING_SIMPLE_SumPostDiv_u32_0_0_2v@rel32@hi+12
	s_swappc_b64 s[30:31], s[0:1]
	s_mov_b64 s[0:1], 0
.LBB1_576:                              ;   in Loop: Header=BB1_84 Depth=1
	s_andn2_b64 vcc, exec, s[0:1]
	s_cbranch_vccnz .LBB1_578
; %bb.577:                              ;   in Loop: Header=BB1_84 Depth=1
	s_add_u32 s8, s36, 0x1000
	s_addc_u32 s9, s37, 0
	s_mov_b64 s[4:5], s[38:39]
	s_mov_b64 s[10:11], s[34:35]
	s_mov_b32 s12, s45
	s_mov_b32 s13, s44
	;; [unrolled: 1-line block ×3, first 2 shown]
	v_mov_b32_e32 v31, v40
	s_getpc_b64 s[0:1]
	s_add_u32 s0, s0, _Z51ncclDevFunc_Reduce_RING_SIMPLE_SumPostDiv_u64_0_0_2v@rel32@lo+4
	s_addc_u32 s1, s1, _Z51ncclDevFunc_Reduce_RING_SIMPLE_SumPostDiv_u64_0_0_2v@rel32@hi+12
	s_swappc_b64 s[30:31], s[0:1]
.LBB1_578:                              ;   in Loop: Header=BB1_84 Depth=1
	s_mov_b64 s[0:1], 0
.LBB1_579:                              ;   in Loop: Header=BB1_84 Depth=1
	s_andn2_b64 vcc, exec, s[0:1]
	s_cbranch_vccnz .LBB1_734
; %bb.580:                              ;   in Loop: Header=BB1_84 Depth=1
	s_cmp_gt_u32 s55, 21
	s_mov_b64 s[0:1], -1
	s_cbranch_scc0 .LBB1_659
; %bb.581:                              ;   in Loop: Header=BB1_84 Depth=1
	s_cmp_gt_u32 s55, 32
	s_cbranch_scc0 .LBB1_620
; %bb.582:                              ;   in Loop: Header=BB1_84 Depth=1
	s_cmp_gt_u32 s55, 37
	;; [unrolled: 3-line block ×3, first 2 shown]
	s_cbranch_scc0 .LBB1_593
; %bb.584:                              ;   in Loop: Header=BB1_84 Depth=1
	v_cmp_lt_i16_e64 s[2:3], s55, 42
	s_and_b64 vcc, exec, s[2:3]
	s_cbranch_vccnz .LBB1_590
; %bb.585:                              ;   in Loop: Header=BB1_84 Depth=1
	v_cmp_ne_u16_e64 s[2:3], s55, 42
	s_and_b64 vcc, exec, s[2:3]
	s_cbranch_vccz .LBB1_587
; %bb.586:                              ;   in Loop: Header=BB1_84 Depth=1
	s_add_u32 s8, s36, 0x1000
	s_addc_u32 s9, s37, 0
	s_mov_b64 s[4:5], s[38:39]
	s_mov_b64 s[10:11], s[34:35]
	s_mov_b32 s12, s45
	s_mov_b32 s13, s44
	;; [unrolled: 1-line block ×3, first 2 shown]
	v_mov_b32_e32 v31, v40
	s_getpc_b64 s[0:1]
	s_add_u32 s0, s0, _Z50ncclDevFunc_Reduce_RING_SIMPLE_SumPostDiv_u8_0_0_2v@rel32@lo+4
	s_addc_u32 s1, s1, _Z50ncclDevFunc_Reduce_RING_SIMPLE_SumPostDiv_u8_0_0_2v@rel32@hi+12
	s_swappc_b64 s[30:31], s[0:1]
	s_mov_b64 s[0:1], 0
.LBB1_587:                              ;   in Loop: Header=BB1_84 Depth=1
	s_andn2_b64 vcc, exec, s[0:1]
	s_cbranch_vccnz .LBB1_589
; %bb.588:                              ;   in Loop: Header=BB1_84 Depth=1
	s_add_u32 s8, s36, 0x1000
	s_addc_u32 s9, s37, 0
	s_mov_b64 s[4:5], s[38:39]
	s_mov_b64 s[10:11], s[34:35]
	s_mov_b32 s12, s45
	s_mov_b32 s13, s44
	;; [unrolled: 1-line block ×3, first 2 shown]
	v_mov_b32_e32 v31, v40
	s_getpc_b64 s[0:1]
	s_add_u32 s0, s0, _Z53ncclDevFunc_Reduce_RING_SIMPLE_PreMulSum_f8e5m2_0_0_2v@rel32@lo+4
	s_addc_u32 s1, s1, _Z53ncclDevFunc_Reduce_RING_SIMPLE_PreMulSum_f8e5m2_0_0_2v@rel32@hi+12
	s_swappc_b64 s[30:31], s[0:1]
.LBB1_589:                              ;   in Loop: Header=BB1_84 Depth=1
	s_mov_b64 s[0:1], 0
.LBB1_590:                              ;   in Loop: Header=BB1_84 Depth=1
	s_andn2_b64 vcc, exec, s[0:1]
	s_cbranch_vccnz .LBB1_592
; %bb.591:                              ;   in Loop: Header=BB1_84 Depth=1
	s_add_u32 s8, s36, 0x1000
	s_addc_u32 s9, s37, 0
	s_mov_b64 s[4:5], s[38:39]
	s_mov_b64 s[10:11], s[34:35]
	s_mov_b32 s12, s45
	s_mov_b32 s13, s44
	;; [unrolled: 1-line block ×3, first 2 shown]
	v_mov_b32_e32 v31, v40
	s_getpc_b64 s[0:1]
	s_add_u32 s0, s0, _Z53ncclDevFunc_Reduce_RING_SIMPLE_PreMulSum_f8e4m3_0_0_2v@rel32@lo+4
	s_addc_u32 s1, s1, _Z53ncclDevFunc_Reduce_RING_SIMPLE_PreMulSum_f8e4m3_0_0_2v@rel32@hi+12
	s_swappc_b64 s[30:31], s[0:1]
.LBB1_592:                              ;   in Loop: Header=BB1_84 Depth=1
	s_mov_b64 s[0:1], 0
.LBB1_593:                              ;   in Loop: Header=BB1_84 Depth=1
	s_and_b64 vcc, exec, s[0:1]
	s_cbranch_vccz .LBB1_602
; %bb.594:                              ;   in Loop: Header=BB1_84 Depth=1
	v_cmp_lt_i16_e64 s[2:3], s55, 39
	s_mov_b64 s[0:1], -1
	s_and_b64 vcc, exec, s[2:3]
	s_cbranch_vccnz .LBB1_600
; %bb.595:                              ;   in Loop: Header=BB1_84 Depth=1
	v_cmp_ne_u16_e64 s[2:3], s55, 39
	s_and_b64 vcc, exec, s[2:3]
	s_cbranch_vccz .LBB1_597
; %bb.596:                              ;   in Loop: Header=BB1_84 Depth=1
	s_add_u32 s8, s36, 0x1000
	s_addc_u32 s9, s37, 0
	s_mov_b64 s[4:5], s[38:39]
	s_mov_b64 s[10:11], s[34:35]
	s_mov_b32 s12, s45
	s_mov_b32 s13, s44
	;; [unrolled: 1-line block ×3, first 2 shown]
	v_mov_b32_e32 v31, v40
	s_getpc_b64 s[0:1]
	s_add_u32 s0, s0, _Z51ncclDevFunc_Reduce_RING_SIMPLE_PreMulSum_bf16_0_1_2v@rel32@lo+4
	s_addc_u32 s1, s1, _Z51ncclDevFunc_Reduce_RING_SIMPLE_PreMulSum_bf16_0_1_2v@rel32@hi+12
	s_swappc_b64 s[30:31], s[0:1]
	s_mov_b64 s[0:1], 0
.LBB1_597:                              ;   in Loop: Header=BB1_84 Depth=1
	s_andn2_b64 vcc, exec, s[0:1]
	s_cbranch_vccnz .LBB1_599
; %bb.598:                              ;   in Loop: Header=BB1_84 Depth=1
	s_add_u32 s8, s36, 0x1000
	s_addc_u32 s9, s37, 0
	s_mov_b64 s[4:5], s[38:39]
	s_mov_b64 s[10:11], s[34:35]
	s_mov_b32 s12, s45
	s_mov_b32 s13, s44
	;; [unrolled: 1-line block ×3, first 2 shown]
	v_mov_b32_e32 v31, v40
	s_getpc_b64 s[0:1]
	s_add_u32 s0, s0, _Z51ncclDevFunc_Reduce_RING_SIMPLE_PreMulSum_bf16_0_0_2v@rel32@lo+4
	s_addc_u32 s1, s1, _Z51ncclDevFunc_Reduce_RING_SIMPLE_PreMulSum_bf16_0_0_2v@rel32@hi+12
	s_swappc_b64 s[30:31], s[0:1]
.LBB1_599:                              ;   in Loop: Header=BB1_84 Depth=1
	s_mov_b64 s[0:1], 0
.LBB1_600:                              ;   in Loop: Header=BB1_84 Depth=1
	s_andn2_b64 vcc, exec, s[0:1]
	s_cbranch_vccnz .LBB1_602
; %bb.601:                              ;   in Loop: Header=BB1_84 Depth=1
	s_add_u32 s8, s36, 0x1000
	s_addc_u32 s9, s37, 0
	s_mov_b64 s[4:5], s[38:39]
	s_mov_b64 s[10:11], s[34:35]
	s_mov_b32 s12, s45
	s_mov_b32 s13, s44
	;; [unrolled: 1-line block ×3, first 2 shown]
	v_mov_b32_e32 v31, v40
	s_getpc_b64 s[0:1]
	s_add_u32 s0, s0, _Z50ncclDevFunc_Reduce_RING_SIMPLE_PreMulSum_f64_0_0_2v@rel32@lo+4
	s_addc_u32 s1, s1, _Z50ncclDevFunc_Reduce_RING_SIMPLE_PreMulSum_f64_0_0_2v@rel32@hi+12
	s_swappc_b64 s[30:31], s[0:1]
.LBB1_602:                              ;   in Loop: Header=BB1_84 Depth=1
	s_mov_b64 s[0:1], 0
.LBB1_603:                              ;   in Loop: Header=BB1_84 Depth=1
	s_andn2_b64 vcc, exec, s[0:1]
	s_cbranch_vccnz .LBB1_619
; %bb.604:                              ;   in Loop: Header=BB1_84 Depth=1
	s_cmp_gt_u32 s55, 34
	s_mov_b64 s[0:1], -1
	s_cbranch_scc0 .LBB1_614
; %bb.605:                              ;   in Loop: Header=BB1_84 Depth=1
	v_cmp_lt_i16_e64 s[2:3], s55, 36
	s_and_b64 vcc, exec, s[2:3]
	s_cbranch_vccnz .LBB1_611
; %bb.606:                              ;   in Loop: Header=BB1_84 Depth=1
	v_cmp_ne_u16_e64 s[2:3], s55, 36
	s_and_b64 vcc, exec, s[2:3]
	s_cbranch_vccz .LBB1_608
; %bb.607:                              ;   in Loop: Header=BB1_84 Depth=1
	s_add_u32 s8, s36, 0x1000
	s_addc_u32 s9, s37, 0
	s_mov_b64 s[4:5], s[38:39]
	s_mov_b64 s[10:11], s[34:35]
	s_mov_b32 s12, s45
	s_mov_b32 s13, s44
	;; [unrolled: 1-line block ×3, first 2 shown]
	v_mov_b32_e32 v31, v40
	s_getpc_b64 s[0:1]
	s_add_u32 s0, s0, _Z50ncclDevFunc_Reduce_RING_SIMPLE_PreMulSum_f32_0_0_2v@rel32@lo+4
	s_addc_u32 s1, s1, _Z50ncclDevFunc_Reduce_RING_SIMPLE_PreMulSum_f32_0_0_2v@rel32@hi+12
	s_swappc_b64 s[30:31], s[0:1]
	s_mov_b64 s[0:1], 0
.LBB1_608:                              ;   in Loop: Header=BB1_84 Depth=1
	s_andn2_b64 vcc, exec, s[0:1]
	s_cbranch_vccnz .LBB1_610
; %bb.609:                              ;   in Loop: Header=BB1_84 Depth=1
	s_add_u32 s8, s36, 0x1000
	s_addc_u32 s9, s37, 0
	s_mov_b64 s[4:5], s[38:39]
	s_mov_b64 s[10:11], s[34:35]
	s_mov_b32 s12, s45
	s_mov_b32 s13, s44
	;; [unrolled: 1-line block ×3, first 2 shown]
	v_mov_b32_e32 v31, v40
	s_getpc_b64 s[0:1]
	s_add_u32 s0, s0, _Z50ncclDevFunc_Reduce_RING_SIMPLE_PreMulSum_f16_0_0_2v@rel32@lo+4
	s_addc_u32 s1, s1, _Z50ncclDevFunc_Reduce_RING_SIMPLE_PreMulSum_f16_0_0_2v@rel32@hi+12
	s_swappc_b64 s[30:31], s[0:1]
.LBB1_610:                              ;   in Loop: Header=BB1_84 Depth=1
	s_mov_b64 s[0:1], 0
.LBB1_611:                              ;   in Loop: Header=BB1_84 Depth=1
	s_andn2_b64 vcc, exec, s[0:1]
	s_cbranch_vccnz .LBB1_613
; %bb.612:                              ;   in Loop: Header=BB1_84 Depth=1
	s_add_u32 s8, s36, 0x1000
	s_addc_u32 s9, s37, 0
	s_mov_b64 s[4:5], s[38:39]
	s_mov_b64 s[10:11], s[34:35]
	s_mov_b32 s12, s45
	s_mov_b32 s13, s44
	;; [unrolled: 1-line block ×3, first 2 shown]
	v_mov_b32_e32 v31, v40
	s_getpc_b64 s[0:1]
	s_add_u32 s0, s0, _Z50ncclDevFunc_Reduce_RING_SIMPLE_PreMulSum_u64_0_0_2v@rel32@lo+4
	s_addc_u32 s1, s1, _Z50ncclDevFunc_Reduce_RING_SIMPLE_PreMulSum_u64_0_0_2v@rel32@hi+12
	s_swappc_b64 s[30:31], s[0:1]
.LBB1_613:                              ;   in Loop: Header=BB1_84 Depth=1
	s_mov_b64 s[0:1], 0
.LBB1_614:                              ;   in Loop: Header=BB1_84 Depth=1
	s_and_b64 vcc, exec, s[0:1]
	s_cbranch_vccz .LBB1_619
; %bb.615:                              ;   in Loop: Header=BB1_84 Depth=1
	s_cmp_eq_u32 s55, 34
	s_mov_b64 s[0:1], -1
	s_cbranch_scc1 .LBB1_617
; %bb.616:                              ;   in Loop: Header=BB1_84 Depth=1
	s_add_u32 s8, s36, 0x1000
	s_addc_u32 s9, s37, 0
	s_mov_b64 s[4:5], s[38:39]
	s_mov_b64 s[10:11], s[34:35]
	s_mov_b32 s12, s45
	s_mov_b32 s13, s44
	;; [unrolled: 1-line block ×3, first 2 shown]
	v_mov_b32_e32 v31, v40
	s_getpc_b64 s[0:1]
	s_add_u32 s0, s0, _Z49ncclDevFunc_Reduce_RING_SIMPLE_PreMulSum_u8_0_0_2v@rel32@lo+4
	s_addc_u32 s1, s1, _Z49ncclDevFunc_Reduce_RING_SIMPLE_PreMulSum_u8_0_0_2v@rel32@hi+12
	s_swappc_b64 s[30:31], s[0:1]
	s_mov_b64 s[0:1], 0
.LBB1_617:                              ;   in Loop: Header=BB1_84 Depth=1
	s_andn2_b64 vcc, exec, s[0:1]
	s_cbranch_vccnz .LBB1_619
; %bb.618:                              ;   in Loop: Header=BB1_84 Depth=1
	s_add_u32 s8, s36, 0x1000
	s_addc_u32 s9, s37, 0
	s_mov_b64 s[4:5], s[38:39]
	s_mov_b64 s[10:11], s[34:35]
	s_mov_b32 s12, s45
	s_mov_b32 s13, s44
	;; [unrolled: 1-line block ×3, first 2 shown]
	v_mov_b32_e32 v31, v40
	s_getpc_b64 s[0:1]
	s_add_u32 s0, s0, _Z50ncclDevFunc_Reduce_RING_SIMPLE_PreMulSum_u32_0_0_2v@rel32@lo+4
	s_addc_u32 s1, s1, _Z50ncclDevFunc_Reduce_RING_SIMPLE_PreMulSum_u32_0_0_2v@rel32@hi+12
	s_swappc_b64 s[30:31], s[0:1]
.LBB1_619:                              ;   in Loop: Header=BB1_84 Depth=1
	s_mov_b64 s[0:1], 0
.LBB1_620:                              ;   in Loop: Header=BB1_84 Depth=1
	s_andn2_b64 vcc, exec, s[0:1]
	s_cbranch_vccnz .LBB1_658
; %bb.621:                              ;   in Loop: Header=BB1_84 Depth=1
	s_cmp_gt_u32 s55, 26
	s_mov_b64 s[0:1], -1
	s_cbranch_scc0 .LBB1_642
; %bb.622:                              ;   in Loop: Header=BB1_84 Depth=1
	s_cmp_gt_u32 s55, 29
	s_cbranch_scc0 .LBB1_632
; %bb.623:                              ;   in Loop: Header=BB1_84 Depth=1
	v_cmp_lt_i16_e64 s[2:3], s55, 31
	s_and_b64 vcc, exec, s[2:3]
	s_cbranch_vccnz .LBB1_629
; %bb.624:                              ;   in Loop: Header=BB1_84 Depth=1
	v_cmp_ne_u16_e64 s[2:3], s55, 31
	s_and_b64 vcc, exec, s[2:3]
	s_cbranch_vccz .LBB1_626
; %bb.625:                              ;   in Loop: Header=BB1_84 Depth=1
	s_add_u32 s8, s36, 0x1000
	s_addc_u32 s9, s37, 0
	s_mov_b64 s[4:5], s[38:39]
	s_mov_b64 s[10:11], s[34:35]
	s_mov_b32 s12, s45
	s_mov_b32 s13, s44
	;; [unrolled: 1-line block ×3, first 2 shown]
	v_mov_b32_e32 v31, v40
	s_getpc_b64 s[0:1]
	s_add_u32 s0, s0, _Z50ncclDevFunc_Reduce_RING_SIMPLE_MinMax_f8e5m2_0_0_2v@rel32@lo+4
	s_addc_u32 s1, s1, _Z50ncclDevFunc_Reduce_RING_SIMPLE_MinMax_f8e5m2_0_0_2v@rel32@hi+12
	s_swappc_b64 s[30:31], s[0:1]
	s_mov_b64 s[0:1], 0
.LBB1_626:                              ;   in Loop: Header=BB1_84 Depth=1
	s_andn2_b64 vcc, exec, s[0:1]
	s_cbranch_vccnz .LBB1_628
; %bb.627:                              ;   in Loop: Header=BB1_84 Depth=1
	s_add_u32 s8, s36, 0x1000
	s_addc_u32 s9, s37, 0
	s_mov_b64 s[4:5], s[38:39]
	s_mov_b64 s[10:11], s[34:35]
	s_mov_b32 s12, s45
	s_mov_b32 s13, s44
	;; [unrolled: 1-line block ×3, first 2 shown]
	v_mov_b32_e32 v31, v40
	s_getpc_b64 s[0:1]
	s_add_u32 s0, s0, _Z50ncclDevFunc_Reduce_RING_SIMPLE_MinMax_f8e4m3_0_0_2v@rel32@lo+4
	s_addc_u32 s1, s1, _Z50ncclDevFunc_Reduce_RING_SIMPLE_MinMax_f8e4m3_0_0_2v@rel32@hi+12
	s_swappc_b64 s[30:31], s[0:1]
.LBB1_628:                              ;   in Loop: Header=BB1_84 Depth=1
	s_mov_b64 s[0:1], 0
.LBB1_629:                              ;   in Loop: Header=BB1_84 Depth=1
	s_andn2_b64 vcc, exec, s[0:1]
	s_cbranch_vccnz .LBB1_631
; %bb.630:                              ;   in Loop: Header=BB1_84 Depth=1
	s_add_u32 s8, s36, 0x1000
	s_addc_u32 s9, s37, 0
	s_mov_b64 s[4:5], s[38:39]
	s_mov_b64 s[10:11], s[34:35]
	s_mov_b32 s12, s45
	s_mov_b32 s13, s44
	;; [unrolled: 1-line block ×3, first 2 shown]
	v_mov_b32_e32 v31, v40
	s_getpc_b64 s[0:1]
	s_add_u32 s0, s0, _Z48ncclDevFunc_Reduce_RING_SIMPLE_MinMax_bf16_0_1_2v@rel32@lo+4
	s_addc_u32 s1, s1, _Z48ncclDevFunc_Reduce_RING_SIMPLE_MinMax_bf16_0_1_2v@rel32@hi+12
	s_swappc_b64 s[30:31], s[0:1]
.LBB1_631:                              ;   in Loop: Header=BB1_84 Depth=1
	s_mov_b64 s[0:1], 0
.LBB1_632:                              ;   in Loop: Header=BB1_84 Depth=1
	s_and_b64 vcc, exec, s[0:1]
	s_cbranch_vccz .LBB1_641
; %bb.633:                              ;   in Loop: Header=BB1_84 Depth=1
	v_cmp_lt_i16_e64 s[2:3], s55, 28
	s_mov_b64 s[0:1], -1
	s_and_b64 vcc, exec, s[2:3]
	s_cbranch_vccnz .LBB1_639
; %bb.634:                              ;   in Loop: Header=BB1_84 Depth=1
	v_cmp_ne_u16_e64 s[2:3], s55, 28
	s_and_b64 vcc, exec, s[2:3]
	s_cbranch_vccz .LBB1_636
; %bb.635:                              ;   in Loop: Header=BB1_84 Depth=1
	s_add_u32 s8, s36, 0x1000
	s_addc_u32 s9, s37, 0
	s_mov_b64 s[4:5], s[38:39]
	s_mov_b64 s[10:11], s[34:35]
	s_mov_b32 s12, s45
	s_mov_b32 s13, s44
	;; [unrolled: 1-line block ×3, first 2 shown]
	v_mov_b32_e32 v31, v40
	s_getpc_b64 s[0:1]
	s_add_u32 s0, s0, _Z48ncclDevFunc_Reduce_RING_SIMPLE_MinMax_bf16_0_0_2v@rel32@lo+4
	s_addc_u32 s1, s1, _Z48ncclDevFunc_Reduce_RING_SIMPLE_MinMax_bf16_0_0_2v@rel32@hi+12
	s_swappc_b64 s[30:31], s[0:1]
	s_mov_b64 s[0:1], 0
.LBB1_636:                              ;   in Loop: Header=BB1_84 Depth=1
	s_andn2_b64 vcc, exec, s[0:1]
	s_cbranch_vccnz .LBB1_638
; %bb.637:                              ;   in Loop: Header=BB1_84 Depth=1
	s_add_u32 s8, s36, 0x1000
	s_addc_u32 s9, s37, 0
	s_mov_b64 s[4:5], s[38:39]
	s_mov_b64 s[10:11], s[34:35]
	s_mov_b32 s12, s45
	s_mov_b32 s13, s44
	;; [unrolled: 1-line block ×3, first 2 shown]
	v_mov_b32_e32 v31, v40
	s_getpc_b64 s[0:1]
	s_add_u32 s0, s0, _Z47ncclDevFunc_Reduce_RING_SIMPLE_MinMax_f64_0_0_2v@rel32@lo+4
	s_addc_u32 s1, s1, _Z47ncclDevFunc_Reduce_RING_SIMPLE_MinMax_f64_0_0_2v@rel32@hi+12
	s_swappc_b64 s[30:31], s[0:1]
.LBB1_638:                              ;   in Loop: Header=BB1_84 Depth=1
	s_mov_b64 s[0:1], 0
.LBB1_639:                              ;   in Loop: Header=BB1_84 Depth=1
	s_andn2_b64 vcc, exec, s[0:1]
	s_cbranch_vccnz .LBB1_641
; %bb.640:                              ;   in Loop: Header=BB1_84 Depth=1
	s_add_u32 s8, s36, 0x1000
	s_addc_u32 s9, s37, 0
	s_mov_b64 s[4:5], s[38:39]
	s_mov_b64 s[10:11], s[34:35]
	s_mov_b32 s12, s45
	s_mov_b32 s13, s44
	;; [unrolled: 1-line block ×3, first 2 shown]
	v_mov_b32_e32 v31, v40
	s_getpc_b64 s[0:1]
	s_add_u32 s0, s0, _Z47ncclDevFunc_Reduce_RING_SIMPLE_MinMax_f32_0_0_2v@rel32@lo+4
	s_addc_u32 s1, s1, _Z47ncclDevFunc_Reduce_RING_SIMPLE_MinMax_f32_0_0_2v@rel32@hi+12
	s_swappc_b64 s[30:31], s[0:1]
.LBB1_641:                              ;   in Loop: Header=BB1_84 Depth=1
	s_mov_b64 s[0:1], 0
.LBB1_642:                              ;   in Loop: Header=BB1_84 Depth=1
	s_andn2_b64 vcc, exec, s[0:1]
	s_cbranch_vccnz .LBB1_658
; %bb.643:                              ;   in Loop: Header=BB1_84 Depth=1
	s_cmp_gt_u32 s55, 23
	s_mov_b64 s[0:1], -1
	s_cbranch_scc0 .LBB1_653
; %bb.644:                              ;   in Loop: Header=BB1_84 Depth=1
	v_cmp_lt_i16_e64 s[2:3], s55, 25
	s_and_b64 vcc, exec, s[2:3]
	s_cbranch_vccnz .LBB1_650
; %bb.645:                              ;   in Loop: Header=BB1_84 Depth=1
	v_cmp_ne_u16_e64 s[2:3], s55, 25
	s_and_b64 vcc, exec, s[2:3]
	s_cbranch_vccz .LBB1_647
; %bb.646:                              ;   in Loop: Header=BB1_84 Depth=1
	s_add_u32 s8, s36, 0x1000
	s_addc_u32 s9, s37, 0
	s_mov_b64 s[4:5], s[38:39]
	s_mov_b64 s[10:11], s[34:35]
	s_mov_b32 s12, s45
	s_mov_b32 s13, s44
	;; [unrolled: 1-line block ×3, first 2 shown]
	v_mov_b32_e32 v31, v40
	s_getpc_b64 s[0:1]
	s_add_u32 s0, s0, _Z47ncclDevFunc_Reduce_RING_SIMPLE_MinMax_f16_0_0_2v@rel32@lo+4
	s_addc_u32 s1, s1, _Z47ncclDevFunc_Reduce_RING_SIMPLE_MinMax_f16_0_0_2v@rel32@hi+12
	s_swappc_b64 s[30:31], s[0:1]
	s_mov_b64 s[0:1], 0
.LBB1_647:                              ;   in Loop: Header=BB1_84 Depth=1
	s_andn2_b64 vcc, exec, s[0:1]
	s_cbranch_vccnz .LBB1_649
; %bb.648:                              ;   in Loop: Header=BB1_84 Depth=1
	s_add_u32 s8, s36, 0x1000
	s_addc_u32 s9, s37, 0
	s_mov_b64 s[4:5], s[38:39]
	s_mov_b64 s[10:11], s[34:35]
	s_mov_b32 s12, s45
	s_mov_b32 s13, s44
	s_mov_b32 s14, s33
	v_mov_b32_e32 v31, v40
	s_getpc_b64 s[0:1]
	s_add_u32 s0, s0, _Z47ncclDevFunc_Reduce_RING_SIMPLE_MinMax_u64_0_0_2v@rel32@lo+4
	s_addc_u32 s1, s1, _Z47ncclDevFunc_Reduce_RING_SIMPLE_MinMax_u64_0_0_2v@rel32@hi+12
	s_swappc_b64 s[30:31], s[0:1]
.LBB1_649:                              ;   in Loop: Header=BB1_84 Depth=1
	s_mov_b64 s[0:1], 0
.LBB1_650:                              ;   in Loop: Header=BB1_84 Depth=1
	s_andn2_b64 vcc, exec, s[0:1]
	s_cbranch_vccnz .LBB1_652
; %bb.651:                              ;   in Loop: Header=BB1_84 Depth=1
	s_add_u32 s8, s36, 0x1000
	s_addc_u32 s9, s37, 0
	s_mov_b64 s[4:5], s[38:39]
	s_mov_b64 s[10:11], s[34:35]
	s_mov_b32 s12, s45
	s_mov_b32 s13, s44
	;; [unrolled: 1-line block ×3, first 2 shown]
	v_mov_b32_e32 v31, v40
	s_getpc_b64 s[0:1]
	s_add_u32 s0, s0, _Z47ncclDevFunc_Reduce_RING_SIMPLE_MinMax_u32_0_0_2v@rel32@lo+4
	s_addc_u32 s1, s1, _Z47ncclDevFunc_Reduce_RING_SIMPLE_MinMax_u32_0_0_2v@rel32@hi+12
	s_swappc_b64 s[30:31], s[0:1]
.LBB1_652:                              ;   in Loop: Header=BB1_84 Depth=1
	s_mov_b64 s[0:1], 0
.LBB1_653:                              ;   in Loop: Header=BB1_84 Depth=1
	s_and_b64 vcc, exec, s[0:1]
	s_cbranch_vccz .LBB1_658
; %bb.654:                              ;   in Loop: Header=BB1_84 Depth=1
	s_cmp_eq_u32 s55, 23
	s_mov_b64 s[0:1], -1
	s_cbranch_scc1 .LBB1_656
; %bb.655:                              ;   in Loop: Header=BB1_84 Depth=1
	s_add_u32 s8, s36, 0x1000
	s_addc_u32 s9, s37, 0
	s_mov_b64 s[4:5], s[38:39]
	s_mov_b64 s[10:11], s[34:35]
	s_mov_b32 s12, s45
	s_mov_b32 s13, s44
	;; [unrolled: 1-line block ×3, first 2 shown]
	v_mov_b32_e32 v31, v40
	s_getpc_b64 s[0:1]
	s_add_u32 s0, s0, _Z48ncclDevFunc_Reduce_RING_SIMPLE_Prod_f8e5m2_0_0_2v@rel32@lo+4
	s_addc_u32 s1, s1, _Z48ncclDevFunc_Reduce_RING_SIMPLE_Prod_f8e5m2_0_0_2v@rel32@hi+12
	s_swappc_b64 s[30:31], s[0:1]
	s_mov_b64 s[0:1], 0
.LBB1_656:                              ;   in Loop: Header=BB1_84 Depth=1
	s_andn2_b64 vcc, exec, s[0:1]
	s_cbranch_vccnz .LBB1_658
; %bb.657:                              ;   in Loop: Header=BB1_84 Depth=1
	s_add_u32 s8, s36, 0x1000
	s_addc_u32 s9, s37, 0
	s_mov_b64 s[4:5], s[38:39]
	s_mov_b64 s[10:11], s[34:35]
	s_mov_b32 s12, s45
	s_mov_b32 s13, s44
	;; [unrolled: 1-line block ×3, first 2 shown]
	v_mov_b32_e32 v31, v40
	s_getpc_b64 s[0:1]
	s_add_u32 s0, s0, _Z46ncclDevFunc_Reduce_RING_SIMPLE_MinMax_u8_0_0_2v@rel32@lo+4
	s_addc_u32 s1, s1, _Z46ncclDevFunc_Reduce_RING_SIMPLE_MinMax_u8_0_0_2v@rel32@hi+12
	s_swappc_b64 s[30:31], s[0:1]
.LBB1_658:                              ;   in Loop: Header=BB1_84 Depth=1
	s_mov_b64 s[0:1], 0
.LBB1_659:                              ;   in Loop: Header=BB1_84 Depth=1
	s_andn2_b64 vcc, exec, s[0:1]
	s_cbranch_vccnz .LBB1_734
; %bb.660:                              ;   in Loop: Header=BB1_84 Depth=1
	s_cmp_gt_u32 s55, 10
	s_mov_b64 s[0:1], -1
	s_cbranch_scc0 .LBB1_699
; %bb.661:                              ;   in Loop: Header=BB1_84 Depth=1
	s_cmp_gt_u32 s55, 15
	s_cbranch_scc0 .LBB1_682
; %bb.662:                              ;   in Loop: Header=BB1_84 Depth=1
	s_cmp_gt_u32 s55, 18
	s_cbranch_scc0 .LBB1_672
; %bb.663:                              ;   in Loop: Header=BB1_84 Depth=1
	v_cmp_lt_i16_e64 s[2:3], s55, 20
	s_and_b64 vcc, exec, s[2:3]
	s_cbranch_vccnz .LBB1_669
; %bb.664:                              ;   in Loop: Header=BB1_84 Depth=1
	v_cmp_ne_u16_e64 s[2:3], s55, 20
	s_and_b64 vcc, exec, s[2:3]
	s_cbranch_vccz .LBB1_666
; %bb.665:                              ;   in Loop: Header=BB1_84 Depth=1
	s_add_u32 s8, s36, 0x1000
	s_addc_u32 s9, s37, 0
	s_mov_b64 s[4:5], s[38:39]
	s_mov_b64 s[10:11], s[34:35]
	s_mov_b32 s12, s45
	s_mov_b32 s13, s44
	;; [unrolled: 1-line block ×3, first 2 shown]
	v_mov_b32_e32 v31, v40
	s_getpc_b64 s[0:1]
	s_add_u32 s0, s0, _Z48ncclDevFunc_Reduce_RING_SIMPLE_Prod_f8e4m3_0_0_2v@rel32@lo+4
	s_addc_u32 s1, s1, _Z48ncclDevFunc_Reduce_RING_SIMPLE_Prod_f8e4m3_0_0_2v@rel32@hi+12
	s_swappc_b64 s[30:31], s[0:1]
	s_mov_b64 s[0:1], 0
.LBB1_666:                              ;   in Loop: Header=BB1_84 Depth=1
	s_andn2_b64 vcc, exec, s[0:1]
	s_cbranch_vccnz .LBB1_668
; %bb.667:                              ;   in Loop: Header=BB1_84 Depth=1
	s_add_u32 s8, s36, 0x1000
	s_addc_u32 s9, s37, 0
	s_mov_b64 s[4:5], s[38:39]
	s_mov_b64 s[10:11], s[34:35]
	s_mov_b32 s12, s45
	s_mov_b32 s13, s44
	;; [unrolled: 1-line block ×3, first 2 shown]
	v_mov_b32_e32 v31, v40
	s_getpc_b64 s[0:1]
	s_add_u32 s0, s0, _Z46ncclDevFunc_Reduce_RING_SIMPLE_Prod_bf16_0_1_2v@rel32@lo+4
	s_addc_u32 s1, s1, _Z46ncclDevFunc_Reduce_RING_SIMPLE_Prod_bf16_0_1_2v@rel32@hi+12
	s_swappc_b64 s[30:31], s[0:1]
.LBB1_668:                              ;   in Loop: Header=BB1_84 Depth=1
	s_mov_b64 s[0:1], 0
.LBB1_669:                              ;   in Loop: Header=BB1_84 Depth=1
	s_andn2_b64 vcc, exec, s[0:1]
	s_cbranch_vccnz .LBB1_671
; %bb.670:                              ;   in Loop: Header=BB1_84 Depth=1
	s_add_u32 s8, s36, 0x1000
	s_addc_u32 s9, s37, 0
	s_mov_b64 s[4:5], s[38:39]
	s_mov_b64 s[10:11], s[34:35]
	s_mov_b32 s12, s45
	s_mov_b32 s13, s44
	;; [unrolled: 1-line block ×3, first 2 shown]
	v_mov_b32_e32 v31, v40
	s_getpc_b64 s[0:1]
	s_add_u32 s0, s0, _Z46ncclDevFunc_Reduce_RING_SIMPLE_Prod_bf16_0_0_2v@rel32@lo+4
	s_addc_u32 s1, s1, _Z46ncclDevFunc_Reduce_RING_SIMPLE_Prod_bf16_0_0_2v@rel32@hi+12
	s_swappc_b64 s[30:31], s[0:1]
.LBB1_671:                              ;   in Loop: Header=BB1_84 Depth=1
	s_mov_b64 s[0:1], 0
.LBB1_672:                              ;   in Loop: Header=BB1_84 Depth=1
	s_and_b64 vcc, exec, s[0:1]
	s_cbranch_vccz .LBB1_681
; %bb.673:                              ;   in Loop: Header=BB1_84 Depth=1
	v_cmp_lt_i16_e64 s[2:3], s55, 17
	s_mov_b64 s[0:1], -1
	s_and_b64 vcc, exec, s[2:3]
	s_cbranch_vccnz .LBB1_679
; %bb.674:                              ;   in Loop: Header=BB1_84 Depth=1
	v_cmp_ne_u16_e64 s[2:3], s55, 17
	s_and_b64 vcc, exec, s[2:3]
	s_cbranch_vccz .LBB1_676
; %bb.675:                              ;   in Loop: Header=BB1_84 Depth=1
	s_add_u32 s8, s36, 0x1000
	s_addc_u32 s9, s37, 0
	s_mov_b64 s[4:5], s[38:39]
	s_mov_b64 s[10:11], s[34:35]
	s_mov_b32 s12, s45
	s_mov_b32 s13, s44
	;; [unrolled: 1-line block ×3, first 2 shown]
	v_mov_b32_e32 v31, v40
	s_getpc_b64 s[0:1]
	s_add_u32 s0, s0, _Z45ncclDevFunc_Reduce_RING_SIMPLE_Prod_f64_0_0_2v@rel32@lo+4
	s_addc_u32 s1, s1, _Z45ncclDevFunc_Reduce_RING_SIMPLE_Prod_f64_0_0_2v@rel32@hi+12
	s_swappc_b64 s[30:31], s[0:1]
	s_mov_b64 s[0:1], 0
.LBB1_676:                              ;   in Loop: Header=BB1_84 Depth=1
	s_andn2_b64 vcc, exec, s[0:1]
	s_cbranch_vccnz .LBB1_678
; %bb.677:                              ;   in Loop: Header=BB1_84 Depth=1
	s_add_u32 s8, s36, 0x1000
	s_addc_u32 s9, s37, 0
	s_mov_b64 s[4:5], s[38:39]
	s_mov_b64 s[10:11], s[34:35]
	s_mov_b32 s12, s45
	s_mov_b32 s13, s44
	;; [unrolled: 1-line block ×3, first 2 shown]
	v_mov_b32_e32 v31, v40
	s_getpc_b64 s[0:1]
	s_add_u32 s0, s0, _Z45ncclDevFunc_Reduce_RING_SIMPLE_Prod_f32_0_0_2v@rel32@lo+4
	s_addc_u32 s1, s1, _Z45ncclDevFunc_Reduce_RING_SIMPLE_Prod_f32_0_0_2v@rel32@hi+12
	s_swappc_b64 s[30:31], s[0:1]
.LBB1_678:                              ;   in Loop: Header=BB1_84 Depth=1
	s_mov_b64 s[0:1], 0
.LBB1_679:                              ;   in Loop: Header=BB1_84 Depth=1
	s_andn2_b64 vcc, exec, s[0:1]
	s_cbranch_vccnz .LBB1_681
; %bb.680:                              ;   in Loop: Header=BB1_84 Depth=1
	s_add_u32 s8, s36, 0x1000
	s_addc_u32 s9, s37, 0
	s_mov_b64 s[4:5], s[38:39]
	s_mov_b64 s[10:11], s[34:35]
	s_mov_b32 s12, s45
	s_mov_b32 s13, s44
	;; [unrolled: 1-line block ×3, first 2 shown]
	v_mov_b32_e32 v31, v40
	s_getpc_b64 s[0:1]
	s_add_u32 s0, s0, _Z45ncclDevFunc_Reduce_RING_SIMPLE_Prod_f16_0_0_2v@rel32@lo+4
	s_addc_u32 s1, s1, _Z45ncclDevFunc_Reduce_RING_SIMPLE_Prod_f16_0_0_2v@rel32@hi+12
	s_swappc_b64 s[30:31], s[0:1]
.LBB1_681:                              ;   in Loop: Header=BB1_84 Depth=1
	s_mov_b64 s[0:1], 0
.LBB1_682:                              ;   in Loop: Header=BB1_84 Depth=1
	s_andn2_b64 vcc, exec, s[0:1]
	s_cbranch_vccnz .LBB1_698
; %bb.683:                              ;   in Loop: Header=BB1_84 Depth=1
	s_cmp_gt_u32 s55, 12
	s_mov_b64 s[0:1], -1
	s_cbranch_scc0 .LBB1_693
; %bb.684:                              ;   in Loop: Header=BB1_84 Depth=1
	v_cmp_lt_i16_e64 s[2:3], s55, 14
	s_and_b64 vcc, exec, s[2:3]
	s_cbranch_vccnz .LBB1_690
; %bb.685:                              ;   in Loop: Header=BB1_84 Depth=1
	v_cmp_ne_u16_e64 s[2:3], s55, 14
	s_and_b64 vcc, exec, s[2:3]
	s_cbranch_vccz .LBB1_687
; %bb.686:                              ;   in Loop: Header=BB1_84 Depth=1
	s_add_u32 s8, s36, 0x1000
	s_addc_u32 s9, s37, 0
	s_mov_b64 s[4:5], s[38:39]
	s_mov_b64 s[10:11], s[34:35]
	s_mov_b32 s12, s45
	s_mov_b32 s13, s44
	;; [unrolled: 1-line block ×3, first 2 shown]
	v_mov_b32_e32 v31, v40
	s_getpc_b64 s[0:1]
	s_add_u32 s0, s0, _Z45ncclDevFunc_Reduce_RING_SIMPLE_Prod_u64_0_0_2v@rel32@lo+4
	s_addc_u32 s1, s1, _Z45ncclDevFunc_Reduce_RING_SIMPLE_Prod_u64_0_0_2v@rel32@hi+12
	s_swappc_b64 s[30:31], s[0:1]
	s_mov_b64 s[0:1], 0
.LBB1_687:                              ;   in Loop: Header=BB1_84 Depth=1
	s_andn2_b64 vcc, exec, s[0:1]
	s_cbranch_vccnz .LBB1_689
; %bb.688:                              ;   in Loop: Header=BB1_84 Depth=1
	s_add_u32 s8, s36, 0x1000
	s_addc_u32 s9, s37, 0
	s_mov_b64 s[4:5], s[38:39]
	s_mov_b64 s[10:11], s[34:35]
	s_mov_b32 s12, s45
	s_mov_b32 s13, s44
	;; [unrolled: 1-line block ×3, first 2 shown]
	v_mov_b32_e32 v31, v40
	s_getpc_b64 s[0:1]
	s_add_u32 s0, s0, _Z45ncclDevFunc_Reduce_RING_SIMPLE_Prod_u32_0_0_2v@rel32@lo+4
	s_addc_u32 s1, s1, _Z45ncclDevFunc_Reduce_RING_SIMPLE_Prod_u32_0_0_2v@rel32@hi+12
	s_swappc_b64 s[30:31], s[0:1]
.LBB1_689:                              ;   in Loop: Header=BB1_84 Depth=1
	s_mov_b64 s[0:1], 0
.LBB1_690:                              ;   in Loop: Header=BB1_84 Depth=1
	s_andn2_b64 vcc, exec, s[0:1]
	s_cbranch_vccnz .LBB1_692
; %bb.691:                              ;   in Loop: Header=BB1_84 Depth=1
	s_add_u32 s8, s36, 0x1000
	s_addc_u32 s9, s37, 0
	s_mov_b64 s[4:5], s[38:39]
	s_mov_b64 s[10:11], s[34:35]
	s_mov_b32 s12, s45
	s_mov_b32 s13, s44
	s_mov_b32 s14, s33
	v_mov_b32_e32 v31, v40
	s_getpc_b64 s[0:1]
	s_add_u32 s0, s0, _Z44ncclDevFunc_Reduce_RING_SIMPLE_Prod_u8_0_0_2v@rel32@lo+4
	s_addc_u32 s1, s1, _Z44ncclDevFunc_Reduce_RING_SIMPLE_Prod_u8_0_0_2v@rel32@hi+12
	s_swappc_b64 s[30:31], s[0:1]
.LBB1_692:                              ;   in Loop: Header=BB1_84 Depth=1
	s_mov_b64 s[0:1], 0
.LBB1_693:                              ;   in Loop: Header=BB1_84 Depth=1
	s_and_b64 vcc, exec, s[0:1]
	s_cbranch_vccz .LBB1_698
; %bb.694:                              ;   in Loop: Header=BB1_84 Depth=1
	s_cmp_eq_u32 s55, 12
	s_mov_b64 s[0:1], -1
	s_cbranch_scc1 .LBB1_696
; %bb.695:                              ;   in Loop: Header=BB1_84 Depth=1
	s_add_u32 s8, s36, 0x1000
	s_addc_u32 s9, s37, 0
	s_mov_b64 s[4:5], s[38:39]
	s_mov_b64 s[10:11], s[34:35]
	s_mov_b32 s12, s45
	s_mov_b32 s13, s44
	;; [unrolled: 1-line block ×3, first 2 shown]
	v_mov_b32_e32 v31, v40
	s_getpc_b64 s[0:1]
	s_add_u32 s0, s0, _Z47ncclDevFunc_Reduce_RING_SIMPLE_Sum_f8e4m3_0_0_2v@rel32@lo+4
	s_addc_u32 s1, s1, _Z47ncclDevFunc_Reduce_RING_SIMPLE_Sum_f8e4m3_0_0_2v@rel32@hi+12
	s_swappc_b64 s[30:31], s[0:1]
	s_mov_b64 s[0:1], 0
.LBB1_696:                              ;   in Loop: Header=BB1_84 Depth=1
	s_andn2_b64 vcc, exec, s[0:1]
	s_cbranch_vccnz .LBB1_698
; %bb.697:                              ;   in Loop: Header=BB1_84 Depth=1
	s_add_u32 s8, s36, 0x1000
	s_addc_u32 s9, s37, 0
	s_mov_b64 s[4:5], s[38:39]
	s_mov_b64 s[10:11], s[34:35]
	s_mov_b32 s12, s45
	s_mov_b32 s13, s44
	;; [unrolled: 1-line block ×3, first 2 shown]
	v_mov_b32_e32 v31, v40
	s_getpc_b64 s[0:1]
	s_add_u32 s0, s0, _Z47ncclDevFunc_Reduce_RING_SIMPLE_Sum_f8e5m2_0_0_2v@rel32@lo+4
	s_addc_u32 s1, s1, _Z47ncclDevFunc_Reduce_RING_SIMPLE_Sum_f8e5m2_0_0_2v@rel32@hi+12
	s_swappc_b64 s[30:31], s[0:1]
.LBB1_698:                              ;   in Loop: Header=BB1_84 Depth=1
	s_mov_b64 s[0:1], 0
.LBB1_699:                              ;   in Loop: Header=BB1_84 Depth=1
	s_andn2_b64 vcc, exec, s[0:1]
	s_cbranch_vccnz .LBB1_734
; %bb.700:                              ;   in Loop: Header=BB1_84 Depth=1
	s_cmp_gt_u32 s55, 4
	s_mov_b64 s[0:1], -1
	s_cbranch_scc0 .LBB1_721
; %bb.701:                              ;   in Loop: Header=BB1_84 Depth=1
	s_cmp_gt_u32 s55, 7
	s_cbranch_scc0 .LBB1_711
; %bb.702:                              ;   in Loop: Header=BB1_84 Depth=1
	v_cmp_lt_i16_e64 s[2:3], s55, 9
	s_and_b64 vcc, exec, s[2:3]
	s_cbranch_vccnz .LBB1_708
; %bb.703:                              ;   in Loop: Header=BB1_84 Depth=1
	v_cmp_ne_u16_e64 s[2:3], s55, 9
	s_and_b64 vcc, exec, s[2:3]
	s_cbranch_vccz .LBB1_705
; %bb.704:                              ;   in Loop: Header=BB1_84 Depth=1
	s_add_u32 s8, s36, 0x1000
	s_addc_u32 s9, s37, 0
	s_mov_b64 s[4:5], s[38:39]
	s_mov_b64 s[10:11], s[34:35]
	s_mov_b32 s12, s45
	s_mov_b32 s13, s44
	;; [unrolled: 1-line block ×3, first 2 shown]
	v_mov_b32_e32 v31, v40
	s_getpc_b64 s[0:1]
	s_add_u32 s0, s0, _Z45ncclDevFunc_Reduce_RING_SIMPLE_Sum_bf16_0_1_2v@rel32@lo+4
	s_addc_u32 s1, s1, _Z45ncclDevFunc_Reduce_RING_SIMPLE_Sum_bf16_0_1_2v@rel32@hi+12
	s_swappc_b64 s[30:31], s[0:1]
	s_mov_b64 s[0:1], 0
.LBB1_705:                              ;   in Loop: Header=BB1_84 Depth=1
	s_andn2_b64 vcc, exec, s[0:1]
	s_cbranch_vccnz .LBB1_707
; %bb.706:                              ;   in Loop: Header=BB1_84 Depth=1
	s_add_u32 s8, s36, 0x1000
	s_addc_u32 s9, s37, 0
	s_mov_b64 s[4:5], s[38:39]
	s_mov_b64 s[10:11], s[34:35]
	s_mov_b32 s12, s45
	s_mov_b32 s13, s44
	s_mov_b32 s14, s33
	v_mov_b32_e32 v31, v40
	s_getpc_b64 s[0:1]
	s_add_u32 s0, s0, _Z45ncclDevFunc_Reduce_RING_SIMPLE_Sum_bf16_0_0_2v@rel32@lo+4
	s_addc_u32 s1, s1, _Z45ncclDevFunc_Reduce_RING_SIMPLE_Sum_bf16_0_0_2v@rel32@hi+12
	s_swappc_b64 s[30:31], s[0:1]
.LBB1_707:                              ;   in Loop: Header=BB1_84 Depth=1
	s_mov_b64 s[0:1], 0
.LBB1_708:                              ;   in Loop: Header=BB1_84 Depth=1
	s_andn2_b64 vcc, exec, s[0:1]
	s_cbranch_vccnz .LBB1_710
; %bb.709:                              ;   in Loop: Header=BB1_84 Depth=1
	s_add_u32 s8, s36, 0x1000
	s_addc_u32 s9, s37, 0
	s_mov_b64 s[4:5], s[38:39]
	s_mov_b64 s[10:11], s[34:35]
	s_mov_b32 s12, s45
	s_mov_b32 s13, s44
	;; [unrolled: 1-line block ×3, first 2 shown]
	v_mov_b32_e32 v31, v40
	s_getpc_b64 s[0:1]
	s_add_u32 s0, s0, _Z44ncclDevFunc_Reduce_RING_SIMPLE_Sum_f64_0_0_2v@rel32@lo+4
	s_addc_u32 s1, s1, _Z44ncclDevFunc_Reduce_RING_SIMPLE_Sum_f64_0_0_2v@rel32@hi+12
	s_swappc_b64 s[30:31], s[0:1]
.LBB1_710:                              ;   in Loop: Header=BB1_84 Depth=1
	s_mov_b64 s[0:1], 0
.LBB1_711:                              ;   in Loop: Header=BB1_84 Depth=1
	s_and_b64 vcc, exec, s[0:1]
	s_cbranch_vccz .LBB1_720
; %bb.712:                              ;   in Loop: Header=BB1_84 Depth=1
	v_cmp_lt_i16_e64 s[2:3], s55, 6
	s_mov_b64 s[0:1], -1
	s_and_b64 vcc, exec, s[2:3]
	s_cbranch_vccnz .LBB1_718
; %bb.713:                              ;   in Loop: Header=BB1_84 Depth=1
	v_cmp_ne_u16_e64 s[2:3], s55, 6
	s_and_b64 vcc, exec, s[2:3]
	s_cbranch_vccz .LBB1_715
; %bb.714:                              ;   in Loop: Header=BB1_84 Depth=1
	s_add_u32 s8, s36, 0x1000
	s_addc_u32 s9, s37, 0
	s_mov_b64 s[4:5], s[38:39]
	s_mov_b64 s[10:11], s[34:35]
	s_mov_b32 s12, s45
	s_mov_b32 s13, s44
	;; [unrolled: 1-line block ×3, first 2 shown]
	v_mov_b32_e32 v31, v40
	s_getpc_b64 s[0:1]
	s_add_u32 s0, s0, _Z44ncclDevFunc_Reduce_RING_SIMPLE_Sum_f32_0_0_2v@rel32@lo+4
	s_addc_u32 s1, s1, _Z44ncclDevFunc_Reduce_RING_SIMPLE_Sum_f32_0_0_2v@rel32@hi+12
	s_swappc_b64 s[30:31], s[0:1]
	s_mov_b64 s[0:1], 0
.LBB1_715:                              ;   in Loop: Header=BB1_84 Depth=1
	s_andn2_b64 vcc, exec, s[0:1]
	s_cbranch_vccnz .LBB1_717
; %bb.716:                              ;   in Loop: Header=BB1_84 Depth=1
	s_add_u32 s8, s36, 0x1000
	s_addc_u32 s9, s37, 0
	s_mov_b64 s[4:5], s[38:39]
	s_mov_b64 s[10:11], s[34:35]
	s_mov_b32 s12, s45
	s_mov_b32 s13, s44
	;; [unrolled: 1-line block ×3, first 2 shown]
	v_mov_b32_e32 v31, v40
	s_getpc_b64 s[0:1]
	s_add_u32 s0, s0, _Z44ncclDevFunc_Reduce_RING_SIMPLE_Sum_f16_0_0_2v@rel32@lo+4
	s_addc_u32 s1, s1, _Z44ncclDevFunc_Reduce_RING_SIMPLE_Sum_f16_0_0_2v@rel32@hi+12
	s_swappc_b64 s[30:31], s[0:1]
.LBB1_717:                              ;   in Loop: Header=BB1_84 Depth=1
	s_mov_b64 s[0:1], 0
.LBB1_718:                              ;   in Loop: Header=BB1_84 Depth=1
	s_andn2_b64 vcc, exec, s[0:1]
	s_cbranch_vccnz .LBB1_720
; %bb.719:                              ;   in Loop: Header=BB1_84 Depth=1
	s_add_u32 s8, s36, 0x1000
	s_addc_u32 s9, s37, 0
	s_mov_b64 s[4:5], s[38:39]
	s_mov_b64 s[10:11], s[34:35]
	s_mov_b32 s12, s45
	s_mov_b32 s13, s44
	;; [unrolled: 1-line block ×3, first 2 shown]
	v_mov_b32_e32 v31, v40
	s_getpc_b64 s[0:1]
	s_add_u32 s0, s0, _Z44ncclDevFunc_Reduce_RING_SIMPLE_Sum_u64_0_0_2v@rel32@lo+4
	s_addc_u32 s1, s1, _Z44ncclDevFunc_Reduce_RING_SIMPLE_Sum_u64_0_0_2v@rel32@hi+12
	s_swappc_b64 s[30:31], s[0:1]
.LBB1_720:                              ;   in Loop: Header=BB1_84 Depth=1
	s_mov_b64 s[0:1], 0
.LBB1_721:                              ;   in Loop: Header=BB1_84 Depth=1
	s_andn2_b64 vcc, exec, s[0:1]
	s_cbranch_vccnz .LBB1_734
; %bb.722:                              ;   in Loop: Header=BB1_84 Depth=1
	s_cmp_gt_u32 s55, 1
	s_mov_b64 s[0:1], -1
	s_cbranch_scc0 .LBB1_732
; %bb.723:                              ;   in Loop: Header=BB1_84 Depth=1
	v_cmp_lt_i16_e64 s[2:3], s55, 3
	s_and_b64 vcc, exec, s[2:3]
	s_cbranch_vccnz .LBB1_729
; %bb.724:                              ;   in Loop: Header=BB1_84 Depth=1
	v_cmp_ne_u16_e64 s[2:3], s55, 3
	s_and_b64 vcc, exec, s[2:3]
	s_cbranch_vccz .LBB1_726
; %bb.725:                              ;   in Loop: Header=BB1_84 Depth=1
	s_add_u32 s8, s36, 0x1000
	s_addc_u32 s9, s37, 0
	s_mov_b64 s[4:5], s[38:39]
	s_mov_b64 s[10:11], s[34:35]
	s_mov_b32 s12, s45
	s_mov_b32 s13, s44
	;; [unrolled: 1-line block ×3, first 2 shown]
	v_mov_b32_e32 v31, v40
	s_getpc_b64 s[0:1]
	s_add_u32 s0, s0, _Z44ncclDevFunc_Reduce_RING_SIMPLE_Sum_u32_0_0_2v@rel32@lo+4
	s_addc_u32 s1, s1, _Z44ncclDevFunc_Reduce_RING_SIMPLE_Sum_u32_0_0_2v@rel32@hi+12
	s_swappc_b64 s[30:31], s[0:1]
	s_mov_b64 s[0:1], 0
.LBB1_726:                              ;   in Loop: Header=BB1_84 Depth=1
	s_andn2_b64 vcc, exec, s[0:1]
	s_cbranch_vccnz .LBB1_728
; %bb.727:                              ;   in Loop: Header=BB1_84 Depth=1
	s_add_u32 s8, s36, 0x1000
	s_addc_u32 s9, s37, 0
	s_mov_b64 s[4:5], s[38:39]
	s_mov_b64 s[10:11], s[34:35]
	s_mov_b32 s12, s45
	s_mov_b32 s13, s44
	s_mov_b32 s14, s33
	v_mov_b32_e32 v31, v40
	s_getpc_b64 s[0:1]
	s_add_u32 s0, s0, _Z43ncclDevFunc_Reduce_RING_SIMPLE_Sum_u8_0_0_2v@rel32@lo+4
	s_addc_u32 s1, s1, _Z43ncclDevFunc_Reduce_RING_SIMPLE_Sum_u8_0_0_2v@rel32@hi+12
	s_swappc_b64 s[30:31], s[0:1]
.LBB1_728:                              ;   in Loop: Header=BB1_84 Depth=1
	s_mov_b64 s[0:1], 0
.LBB1_729:                              ;   in Loop: Header=BB1_84 Depth=1
	s_andn2_b64 vcc, exec, s[0:1]
	s_cbranch_vccnz .LBB1_731
; %bb.730:                              ;   in Loop: Header=BB1_84 Depth=1
	s_add_u32 s8, s36, 0x1000
	s_addc_u32 s9, s37, 0
	s_mov_b64 s[4:5], s[38:39]
	s_mov_b64 s[10:11], s[34:35]
	s_mov_b32 s12, s45
	s_mov_b32 s13, s44
	;; [unrolled: 1-line block ×3, first 2 shown]
	v_mov_b32_e32 v31, v40
	s_getpc_b64 s[0:1]
	s_add_u32 s0, s0, _Z46ncclDevFunc_Broadcast_RING_SIMPLE_Sum_i8_0_0_2v@rel32@lo+4
	s_addc_u32 s1, s1, _Z46ncclDevFunc_Broadcast_RING_SIMPLE_Sum_i8_0_0_2v@rel32@hi+12
	s_swappc_b64 s[30:31], s[0:1]
.LBB1_731:                              ;   in Loop: Header=BB1_84 Depth=1
	s_mov_b64 s[0:1], 0
.LBB1_732:                              ;   in Loop: Header=BB1_84 Depth=1
	s_and_b64 vcc, exec, s[0:1]
	s_cbranch_vccz .LBB1_734
; %bb.733:                              ;   in Loop: Header=BB1_84 Depth=1
	s_add_u32 s8, s36, 0x1000
	s_addc_u32 s9, s37, 0
	s_mov_b64 s[4:5], s[38:39]
	s_mov_b64 s[10:11], s[34:35]
	s_mov_b32 s12, s45
	s_mov_b32 s13, s44
	;; [unrolled: 1-line block ×3, first 2 shown]
	v_mov_b32_e32 v31, v40
	s_getpc_b64 s[0:1]
	s_add_u32 s0, s0, _Z42ncclDevFunc_Broadcast_RING_LL_Sum_i8_0_0_2v@rel32@lo+4
	s_addc_u32 s1, s1, _Z42ncclDevFunc_Broadcast_RING_LL_Sum_i8_0_0_2v@rel32@hi+12
	s_swappc_b64 s[30:31], s[0:1]
.LBB1_734:                              ;   in Loop: Header=BB1_84 Depth=1
	ds_read_b32 v0, v43 offset:16996
	s_waitcnt lgkmcnt(0)
	v_cmp_eq_u32_e32 vcc, -1, v0
	v_readfirstlane_b32 s8, v0
	s_cbranch_vccnz .LBB1_749
; %bb.735:                              ;   in Loop: Header=BB1_84 Depth=1
	s_barrier
	s_and_saveexec_b64 s[0:1], s[46:47]
	s_cbranch_execz .LBB1_739
; %bb.736:                              ;   in Loop: Header=BB1_84 Depth=1
	s_and_saveexec_b64 s[2:3], s[42:43]
	s_cbranch_execz .LBB1_738
; %bb.737:                              ;   in Loop: Header=BB1_84 Depth=1
	v_mov_b32_e32 v42, v43
	ds_write_b64 v43, v[42:43] offset:19736
.LBB1_738:                              ;   in Loop: Header=BB1_84 Depth=1
	s_or_b64 exec, exec, s[2:3]
	v_mov_b32_e32 v42, v43
	ds_write_b64 v41, v[42:43]
.LBB1_739:                              ;   in Loop: Header=BB1_84 Depth=1
	s_or_b64 exec, exec, s[0:1]
	s_and_saveexec_b64 s[0:1], s[40:41]
	s_cbranch_execz .LBB1_751
; %bb.740:                              ;   in Loop: Header=BB1_84 Depth=1
	ds_read_b64 v[2:3], v43 offset:16976
	ds_read_b32 v4, v43 offset:17004
	s_waitcnt lgkmcnt(0)
	v_lshl_add_u64 v[0:1], v[2:3], 0, 1
	v_ashrrev_i32_e32 v5, 31, v4
	v_lshl_add_u64 v[6:7], v[2:3], 0, v[4:5]
	v_cmp_gt_u64_e32 vcc, v[0:1], v[6:7]
	s_cbranch_vccnz .LBB1_750
; %bb.741:                              ;   in Loop: Header=BB1_84 Depth=1
	ds_read_u8 v8, v43 offset:17000
	s_movk_i32 s4, 0x494e
	s_movk_i32 s5, 0x491a
	s_branch .LBB1_743
.LBB1_742:                              ;   in Loop: Header=BB1_743 Depth=2
	s_waitcnt lgkmcnt(0)
	v_ashrrev_i32_e32 v5, 31, v4
	v_lshl_add_u64 v[0:1], v[0:1], 0, 1
	v_lshl_add_u64 v[6:7], v[2:3], 0, v[4:5]
	v_cmp_le_u64_e32 vcc, v[0:1], v[6:7]
	s_add_i32 s4, s4, 64
	s_addk_i32 s5, 0x80
	s_cbranch_vccz .LBB1_750
.LBB1_743:                              ;   Parent Loop BB1_84 Depth=1
                                        ; =>  This Inner Loop Header: Depth=2
	s_waitcnt lgkmcnt(0)
	v_cmp_ne_u16_sdwa s[2:3], v8, v43 src0_sel:BYTE_0 src1_sel:DWORD
	s_and_b64 vcc, exec, s[2:3]
	s_cbranch_vccz .LBB1_748
; %bb.744:                              ;   in Loop: Header=BB1_743 Depth=2
	v_mov_b32_e32 v5, s5
	ds_read_u8 v5, v5
	s_waitcnt lgkmcnt(0)
	v_and_b32_e32 v5, 1, v5
	s_cbranch_execnz .LBB1_746
.LBB1_745:                              ;   in Loop: Header=BB1_743 Depth=2
	v_mov_b32_e32 v5, s4
	ds_read_u16 v5, v5
	s_waitcnt lgkmcnt(0)
	v_bfe_u32 v5, v5, 6, 1
.LBB1_746:                              ;   in Loop: Header=BB1_743 Depth=2
	v_cmp_eq_u32_e32 vcc, 0, v5
	s_cbranch_vccnz .LBB1_742
; %bb.747:                              ;   in Loop: Header=BB1_743 Depth=2
	s_memrealtime s[2:3]
	ds_read_u8 v8, v43 offset:17000
	ds_read_b32 v2, v43 offset:16496
	ds_read_b64 v[4:5], v43 offset:16600
	v_and_b32_e32 v6, 63, v0
	v_lshlrev_b32_e32 v42, 4, v6
	s_waitcnt lgkmcnt(0)
	v_ashrrev_i32_e32 v3, 31, v2
	v_lshlrev_b64 v[2:3], 10, v[2:3]
	v_lshl_add_u64 v[2:3], v[4:5], 0, v[2:3]
	v_lshl_add_u64 v[4:5], v[2:3], 0, v[42:43]
	v_mov_b32_e32 v2, s2
	v_mov_b32_e32 v3, s3
	flat_store_dwordx4 v[4:5], v[0:3]
	ds_read_b64 v[2:3], v43 offset:16976
	ds_read_b32 v4, v43 offset:17004
	s_branch .LBB1_742
.LBB1_748:                              ;   in Loop: Header=BB1_743 Depth=2
                                        ; implicit-def: $vgpr5
	s_branch .LBB1_745
.LBB1_749:                              ;   in Loop: Header=BB1_84 Depth=1
	s_cbranch_execz .LBB1_84
	s_branch .LBB1_70
.LBB1_750:                              ;   in Loop: Header=BB1_84 Depth=1
	ds_write_b64 v43, v[6:7] offset:16976
.LBB1_751:                              ;   in Loop: Header=BB1_84 Depth=1
	s_or_b64 exec, exec, s[0:1]
	s_mov_b32 s10, 0
	v_mov_b32_e32 v9, v56
                                        ; implicit-def: $vgpr0_vgpr1_vgpr2_vgpr3
	s_branch .LBB1_754
.LBB1_752:                              ;   in Loop: Header=BB1_754 Depth=2
	s_or_b64 exec, exec, s[6:7]
	s_mov_b32 s5, s8
	v_mov_b32_e32 v4, v9
.LBB1_753:                              ;   in Loop: Header=BB1_754 Depth=2
	s_andn2_b64 vcc, exec, s[2:3]
	s_mov_b32 s8, s5
	v_mov_b32_e32 v9, v4
	s_cbranch_vccz .LBB1_83
.LBB1_754:                              ;   Parent Loop BB1_84 Depth=1
                                        ; =>  This Inner Loop Header: Depth=2
	s_ashr_i32 s9, s8, 31
	s_lshl_b64 s[0:1], s[8:9], 4
	s_add_u32 s0, s51, s0
	s_addc_u32 s1, s52, s1
	s_load_dwordx4 s[4:7], s[0:1], 0x0
	s_waitcnt lgkmcnt(0)
	v_and_b32_e32 v5, s7, v45
	v_and_b32_e32 v4, s6, v44
	v_cmp_ne_u64_e32 vcc, 0, v[4:5]
	s_and_saveexec_b64 s[0:1], vcc
	s_cbranch_execz .LBB1_756
; %bb.755:                              ;   in Loop: Header=BB1_754 Depth=2
	v_and_b32_e32 v5, s6, v46
	v_and_b32_e32 v4, s7, v47
	v_bcnt_u32_b32 v5, v5, 0
	v_bcnt_u32_b32 v4, v4, v5
	v_add_u32_e32 v4, v57, v4
	ds_write_b8 v4, v56
.LBB1_756:                              ;   in Loop: Header=BB1_754 Depth=2
	s_or_b64 exec, exec, s[0:1]
	s_bcnt1_i32_b64 s11, s[6:7]
	s_bfe_u32 s9, s4, 0x2000f
	s_cmp_lt_i32 s9, 1
	s_cbranch_scc1 .LBB1_759
; %bb.757:                              ;   in Loop: Header=BB1_754 Depth=2
	s_cmp_lg_u32 s9, 1
	s_cbranch_scc0 .LBB1_760
; %bb.758:                              ;   in Loop: Header=BB1_754 Depth=2
	s_mov_b32 s13, 20
	v_mul_u32_u24_e64 v4, s11, 20
	s_movk_i32 s12, 0x140
	s_cbranch_execz .LBB1_761
	s_branch .LBB1_762
.LBB1_759:                              ;   in Loop: Header=BB1_754 Depth=2
                                        ; implicit-def: $vgpr4
                                        ; implicit-def: $sgpr12
                                        ; implicit-def: $sgpr13
	s_branch .LBB1_763
.LBB1_760:                              ;   in Loop: Header=BB1_754 Depth=2
                                        ; implicit-def: $vgpr4
                                        ; implicit-def: $sgpr12
                                        ; implicit-def: $sgpr13
.LBB1_761:                              ;   in Loop: Header=BB1_754 Depth=2
	s_lshl_b32 s0, s11, 3
	s_mov_b32 s13, 8
	s_movk_i32 s12, 0x80
	v_mov_b32_e32 v4, s0
.LBB1_762:                              ;   in Loop: Header=BB1_754 Depth=2
	s_cbranch_execnz .LBB1_764
.LBB1_763:                              ;   in Loop: Header=BB1_754 Depth=2
	s_lshl_b32 s0, s11, 2
	s_mov_b32 s12, 64
	s_mov_b32 s13, 4
	v_mov_b32_e32 v4, s0
.LBB1_764:                              ;   in Loop: Header=BB1_754 Depth=2
	v_cmp_eq_u32_e64 s[0:1], 0, v9
	s_and_saveexec_b64 s[2:3], s[0:1]
	s_cbranch_execz .LBB1_766
; %bb.765:                              ;   in Loop: Header=BB1_754 Depth=2
	v_mov_b32_e32 v5, s12
	ds_write_b32 v43, v5 offset:17008
	s_or_b64 exec, exec, s[2:3]
	v_cmp_lt_i32_e32 vcc, v9, v4
	s_and_saveexec_b64 s[6:7], vcc
	s_cbranch_execz .LBB1_774
	s_branch .LBB1_767
.LBB1_766:                              ;   in Loop: Header=BB1_754 Depth=2
	s_or_b64 exec, exec, s[2:3]
	v_cmp_lt_i32_e32 vcc, v9, v4
	s_and_saveexec_b64 s[6:7], vcc
	s_cbranch_execz .LBB1_774
.LBB1_767:                              ;   in Loop: Header=BB1_754 Depth=2
	v_cvt_f32_u32_e32 v4, s13
	s_sub_i32 s2, 0, s13
	v_sub_u32_e32 v6, 0, v9
	v_max_i32_e32 v6, v9, v6
	v_rcp_iflag_f32_e32 v4, v4
	v_ashrrev_i32_e32 v5, 31, v9
	v_mul_f32_e32 v4, 0x4f7ffffe, v4
	v_cvt_u32_f32_e32 v4, v4
	v_mul_lo_u32 v7, s2, v4
	v_mul_hi_u32 v7, v4, v7
	v_add_u32_e32 v4, v4, v7
	v_mul_hi_u32 v4, v6, v4
	v_mul_lo_u32 v7, v4, s13
	v_sub_u32_e32 v6, v6, v7
	v_add_u32_e32 v8, 1, v4
	v_cmp_le_u32_e32 vcc, s13, v6
	v_subrev_u32_e32 v7, s13, v6
	s_nop 0
	v_cndmask_b32_e32 v4, v4, v8, vcc
	v_cndmask_b32_e32 v6, v6, v7, vcc
	v_add_u32_e32 v7, 1, v4
	v_cmp_le_u32_e32 vcc, s13, v6
	ds_read_u8 v6, v43 offset:16472
	s_nop 0
	v_cndmask_b32_e32 v4, v4, v7, vcc
	v_xor_b32_e32 v4, v4, v5
	v_sub_u32_e32 v10, v4, v5
	v_add_u32_e32 v4, v57, v10
	ds_read_u8 v4, v4
	v_mul_lo_u32 v5, v10, s13
	v_sub_u32_e32 v5, v9, v5
	s_waitcnt lgkmcnt(0)
	v_cmp_ne_u16_e64 s[2:3], 0, v6
	s_and_b64 vcc, exec, s[2:3]
	v_lshlrev_b32_e32 v11, 4, v5
	s_cbranch_vccz .LBB1_770
; %bb.768:                              ;   in Loop: Header=BB1_754 Depth=2
	s_and_b64 vcc, exec, s[2:3]
	s_cbranch_vccz .LBB1_771
.LBB1_769:                              ;   in Loop: Header=BB1_754 Depth=2
	ds_read_b32 v12, v43 offset:16476
	ds_read_b64 v[6:7], v43 offset:16480
	v_mul_u32_u24_e32 v4, s12, v4
	v_lshlrev_b32_e32 v8, 4, v5
	v_add3_u32 v4, v8, s5, v4
	s_waitcnt lgkmcnt(0)
	v_and_b32_e32 v42, v12, v4
	v_lshl_add_u64 v[4:5], v[6:7], 0, v[42:43]
	flat_load_dwordx4 v[4:7], v[4:5]
	s_cbranch_execz .LBB1_772
	s_branch .LBB1_773
.LBB1_770:                              ;   in Loop: Header=BB1_754 Depth=2
	v_mul_u32_u24_e32 v0, s12, v4
	v_lshlrev_b32_e32 v1, 4, v5
	v_add3_u32 v0, v1, s5, v0
	global_load_dwordx4 v[0:3], v0, s[36:37]
	s_and_b64 vcc, exec, s[2:3]
	s_cbranch_vccnz .LBB1_769
.LBB1_771:                              ;   in Loop: Header=BB1_754 Depth=2
                                        ; implicit-def: $vgpr4_vgpr5_vgpr6_vgpr7
                                        ; implicit-def: $vgpr8
.LBB1_772:                              ;   in Loop: Header=BB1_754 Depth=2
	s_waitcnt vmcnt(0) lgkmcnt(0)
	v_mov_b64_e32 v[6:7], v[2:3]
	v_mov_b32_e32 v8, v11
	v_mov_b64_e32 v[4:5], v[0:1]
.LBB1_773:                              ;   in Loop: Header=BB1_754 Depth=2
	s_waitcnt vmcnt(0)
	v_add_u32_e32 v0, s10, v10
	v_mad_u64_u32 v[0:1], s[2:3], v0, s12, v[8:9]
	s_waitcnt lgkmcnt(0)
	ds_write_b128 v0, v[4:7] offset:18704
	v_mov_b64_e32 v[0:1], v[4:5]
	v_mov_b64_e32 v[2:3], v[6:7]
.LBB1_774:                              ;   in Loop: Header=BB1_754 Depth=2
	s_or_b64 exec, exec, s[6:7]
	s_bitcmp0_b32 s4, 14
	s_cselect_b64 s[2:3], -1, 0
	s_and_b64 vcc, exec, s[2:3]
	s_cbranch_vccnz .LBB1_776
; %bb.775:                              ;   in Loop: Header=BB1_754 Depth=2
	v_mov_b32_e32 v4, s50
	v_cmp_gt_i32_e32 vcc, 64, v9
	s_and_b32 s5, s4, 0x3fff
	s_add_i32 s5, s5, s8
	v_cndmask_b32_e32 v4, 0, v4, vcc
	v_add3_u32 v4, v9, v4, s54
	s_add_i32 s10, s10, s11
	s_cbranch_execnz .LBB1_753
	s_branch .LBB1_777
.LBB1_776:                              ;   in Loop: Header=BB1_754 Depth=2
                                        ; implicit-def: $vgpr4
                                        ; implicit-def: $sgpr5
	s_add_i32 s10, s10, s11
.LBB1_777:                              ;   in Loop: Header=BB1_754 Depth=2
	s_and_saveexec_b64 s[6:7], s[0:1]
	s_cbranch_execz .LBB1_752
; %bb.778:                              ;   in Loop: Header=BB1_754 Depth=2
	s_and_b32 s0, s4, 0x3fff
	s_add_i32 s1, s0, s8
	s_cmp_lg_u32 s0, 0
	s_cselect_b32 s0, s1, -1
	v_mov_b32_e32 v4, s8
	v_mov_b32_e32 v5, s0
	ds_write_b64 v43, v[4:5] offset:16992
	v_mov_b32_e32 v4, s9
	ds_write_b8 v43, v4 offset:17000
	v_mov_b32_e32 v4, s10
	s_lshr_b32 s0, s4, 17
	ds_write_b32 v43, v4 offset:17004
	v_mov_b32_e32 v4, s0
	v_mov_b32_e32 v9, 0
	ds_write_b16 v43, v4 offset:17002
	s_branch .LBB1_752
	.section	.rodata,"a",@progbits
	.p2align	6, 0x0
	.amdhsa_kernel _Z23ncclDevKernel_Generic_224ncclDevKernelArgsStorageILm4096EE
		.amdhsa_group_segment_fixed_size 19744
		.amdhsa_private_segment_fixed_size 0
		.amdhsa_kernarg_size 4352
		.amdhsa_user_sgpr_count 6
		.amdhsa_user_sgpr_dispatch_ptr 1
		.amdhsa_user_sgpr_queue_ptr 0
		.amdhsa_user_sgpr_kernarg_segment_ptr 1
		.amdhsa_user_sgpr_dispatch_id 1
		.amdhsa_user_sgpr_kernarg_preload_length 0
		.amdhsa_user_sgpr_kernarg_preload_offset 0
		.amdhsa_user_sgpr_private_segment_size 0
		.amdhsa_uses_dynamic_stack 1
		.amdhsa_enable_private_segment 1
		.amdhsa_system_sgpr_workgroup_id_x 1
		.amdhsa_system_sgpr_workgroup_id_y 1
		.amdhsa_system_sgpr_workgroup_id_z 1
		.amdhsa_system_sgpr_workgroup_info 0
		.amdhsa_system_vgpr_workitem_id 2
		.amdhsa_next_free_vgpr 94
		.amdhsa_next_free_sgpr 56
		.amdhsa_accum_offset 96
		.amdhsa_reserve_vcc 1
		.amdhsa_float_round_mode_32 0
		.amdhsa_float_round_mode_16_64 0
		.amdhsa_float_denorm_mode_32 3
		.amdhsa_float_denorm_mode_16_64 3
		.amdhsa_dx10_clamp 1
		.amdhsa_ieee_mode 1
		.amdhsa_fp16_overflow 0
		.amdhsa_tg_split 0
		.amdhsa_exception_fp_ieee_invalid_op 0
		.amdhsa_exception_fp_denorm_src 0
		.amdhsa_exception_fp_ieee_div_zero 0
		.amdhsa_exception_fp_ieee_overflow 0
		.amdhsa_exception_fp_ieee_underflow 0
		.amdhsa_exception_fp_ieee_inexact 0
		.amdhsa_exception_int_div_zero 0
	.end_amdhsa_kernel
	.text
.Lfunc_end1:
	.size	_Z23ncclDevKernel_Generic_224ncclDevKernelArgsStorageILm4096EE, .Lfunc_end1-_Z23ncclDevKernel_Generic_224ncclDevKernelArgsStorageILm4096EE
                                        ; -- End function
	.section	.AMDGPU.csdata,"",@progbits
; Kernel info:
; codeLenInByte = 19112
; NumSgprs: 62
; NumVgprs: 94
; NumAgprs: 0
; TotalNumVgprs: 94
; ScratchSize: 0
; MemoryBound: 1
; FloatMode: 240
; IeeeMode: 1
; LDSByteSize: 19744 bytes/workgroup (compile time only)
; SGPRBlocks: 7
; VGPRBlocks: 11
; NumSGPRsForWavesPerEU: 62
; NumVGPRsForWavesPerEU: 94
; AccumOffset: 96
; Occupancy: 3
; WaveLimiterHint : 0
; COMPUTE_PGM_RSRC2:SCRATCH_EN: 1
; COMPUTE_PGM_RSRC2:USER_SGPR: 6
; COMPUTE_PGM_RSRC2:TRAP_HANDLER: 0
; COMPUTE_PGM_RSRC2:TGID_X_EN: 1
; COMPUTE_PGM_RSRC2:TGID_Y_EN: 1
; COMPUTE_PGM_RSRC2:TGID_Z_EN: 1
; COMPUTE_PGM_RSRC2:TIDIG_COMP_CNT: 2
; COMPUTE_PGM_RSRC3_GFX90A:ACCUM_OFFSET: 23
; COMPUTE_PGM_RSRC3_GFX90A:TG_SPLIT: 0
	.text
	.protected	_Z23ncclDevKernel_Generic_424ncclDevKernelArgsStorageILm4096EE ; -- Begin function _Z23ncclDevKernel_Generic_424ncclDevKernelArgsStorageILm4096EE
	.globl	_Z23ncclDevKernel_Generic_424ncclDevKernelArgsStorageILm4096EE
	.p2align	8
	.type	_Z23ncclDevKernel_Generic_424ncclDevKernelArgsStorageILm4096EE,@function
_Z23ncclDevKernel_Generic_424ncclDevKernelArgsStorageILm4096EE: ; @_Z23ncclDevKernel_Generic_424ncclDevKernelArgsStorageILm4096EE
; %bb.0:
	v_mov_b32_e32 v40, v0
	v_and_b32_e32 v15, 0x3ff, v40
	s_mov_b32 s33, s8
	s_mov_b32 s44, s7
	;; [unrolled: 1-line block ×3, first 2 shown]
	s_mov_b64 s[34:35], s[4:5]
	s_mov_b64 s[36:37], s[2:3]
	;; [unrolled: 1-line block ×3, first 2 shown]
	v_cmp_gt_u32_e32 vcc, 12, v15
	s_mov_b32 s32, 0
	s_and_saveexec_b64 s[0:1], vcc
	s_cbranch_execz .LBB2_2
; %bb.1:
	v_lshlrev_b32_e32 v0, 2, v15
	global_load_dword v1, v0, s[36:37]
	s_waitcnt vmcnt(0)
	ds_write_b32 v0, v1 offset:16448
.LBB2_2:
	s_or_b64 exec, exec, s[0:1]
	s_load_dword s14, s[36:37], 0x100c
	v_lshrrev_b32_e32 v16, 6, v15
	v_cmp_lt_i32_e32 vcc, 0, v16
	s_and_saveexec_b64 s[0:1], vcc
	s_xor_b64 s[0:1], exec, s[0:1]
	s_cbranch_execz .LBB2_16
; %bb.3:
	v_cmp_lt_i32_e32 vcc, 2, v16
	s_and_saveexec_b64 s[2:3], vcc
	s_xor_b64 s[2:3], exec, s[2:3]
	s_cbranch_execz .LBB2_8
; %bb.4:
	v_cmp_eq_u32_e32 vcc, 3, v16
	s_and_saveexec_b64 s[4:5], vcc
	s_cbranch_execz .LBB2_7
; %bb.5:
	s_movk_i32 s6, 0xc0
	v_cmp_eq_u32_e32 vcc, s6, v15
	s_and_b64 exec, exec, vcc
	s_cbranch_execz .LBB2_7
; %bb.6:
	v_mov_b32_e32 v0, 0
	ds_write_b32 v0, v0 offset:16500
.LBB2_7:
	s_or_b64 exec, exec, s[4:5]
.LBB2_8:
	s_andn2_saveexec_b64 s[2:3], s[2:3]
	s_cbranch_execz .LBB2_15
; %bb.9:
	v_cmp_eq_u32_e32 vcc, 1, v16
	s_and_saveexec_b64 s[4:5], vcc
	s_cbranch_execz .LBB2_14
; %bb.10:
	s_movk_i32 s6, 0x44
	v_cmp_gt_u32_e32 vcc, s6, v15
	s_and_b64 exec, exec, vcc
	s_cbranch_execz .LBB2_14
; %bb.11:
	v_cmp_eq_u32_e32 vcc, 64, v15
	s_and_saveexec_b64 s[6:7], vcc
	s_cbranch_execz .LBB2_13
; %bb.12:
	v_mov_b32_e32 v0, 0
	v_mov_b32_e32 v1, v0
	ds_write_b64 v0, v[0:1] offset:19736
.LBB2_13:
	s_or_b64 exec, exec, s[6:7]
	s_movk_i32 s6, 0x160
	v_mov_b32_e32 v0, 0xffffeb98
	v_mad_u32_u24 v2, v15, s6, v0
	v_mov_b32_e32 v0, 0
	v_mov_b32_e32 v1, v0
	ds_write_b64 v2, v[0:1]
.LBB2_14:
	s_or_b64 exec, exec, s[4:5]
.LBB2_15:
	s_or_b64 exec, exec, s[2:3]
.LBB2_16:
	s_andn2_saveexec_b64 s[0:1], s[0:1]
	s_cbranch_execz .LBB2_22
; %bb.17:
	s_load_dwordx2 s[4:5], s[36:37], 0x8
	v_lshlrev_b64 v[2:3], v15, 1
	s_mov_b64 s[2:3], 0
	v_lshl_add_u64 v[0:1], v[2:3], 0, -1
                                        ; implicit-def: $sgpr10
	s_waitcnt lgkmcnt(0)
	v_and_b32_e32 v5, s5, v3
	v_and_b32_e32 v4, s4, v2
	v_cmp_eq_u64_e64 s[8:9], 0, v[4:5]
	v_cmp_ne_u64_e32 vcc, 0, v[4:5]
	s_and_saveexec_b64 s[6:7], vcc
	s_cbranch_execz .LBB2_58
; %bb.18:
	v_and_b32_e32 v5, s4, v0
	v_and_b32_e32 v4, s5, v1
	v_bcnt_u32_b32 v5, v5, 0
	v_bcnt_u32_b32 v4, v4, v5
	v_cmp_ne_u32_e32 vcc, s45, v4
	s_andn2_b64 s[8:9], s[8:9], exec
	s_and_b64 s[12:13], vcc, exec
	s_mov_b64 s[2:3], exec
	s_mov_b32 s10, 0
	s_or_b64 s[8:9], s[8:9], s[12:13]
	s_or_b64 exec, exec, s[6:7]
	v_mov_b32_e32 v4, s10
	s_and_saveexec_b64 s[6:7], s[8:9]
	s_cbranch_execnz .LBB2_59
.LBB2_19:
	s_or_b64 exec, exec, s[6:7]
	s_and_saveexec_b64 s[4:5], s[2:3]
	s_cbranch_execz .LBB2_21
.LBB2_20:
	v_add_u32_e32 v0, v4, v15
	v_mov_b32_e32 v1, 0
	ds_write_b32 v1, v0 offset:16496
.LBB2_21:
	s_or_b64 exec, exec, s[4:5]
.LBB2_22:
	s_or_b64 exec, exec, s[0:1]
	v_cmp_eq_u32_e64 s[40:41], 0, v15
	s_waitcnt lgkmcnt(0)
	s_barrier
	s_and_saveexec_b64 s[0:1], s[40:41]
	s_cbranch_execz .LBB2_24
; %bb.23:
	v_mov_b32_e32 v4, 0
	ds_read_b32 v2, v4 offset:16496
	ds_read_b64 v[0:1], v4 offset:16448
	s_movk_i32 s2, 0x180
	s_waitcnt lgkmcnt(1)
	v_mul_hi_i32 v3, v2, s2
	v_mul_lo_u32 v2, v2, s2
	s_waitcnt lgkmcnt(0)
	v_lshl_add_u64 v[0:1], v[0:1], 0, v[2:3]
	flat_load_dwordx2 v[0:1], v[0:1] offset:464
	ds_write_b32 v4, v4 offset:16500
	s_waitcnt vmcnt(0) lgkmcnt(0)
	ds_write_b64 v4, v[0:1] offset:16976
.LBB2_24:
	s_or_b64 exec, exec, s[0:1]
	s_and_b32 s50, 0xffff, s14
	v_cmp_lt_i32_e32 vcc, 0, v16
	s_mov_b64 s[0:1], 0
                                        ; implicit-def: $vgpr0_vgpr1
                                        ; implicit-def: $vgpr2
	s_and_saveexec_b64 s[2:3], vcc
	s_xor_b64 s[4:5], exec, s[2:3]
	s_cbranch_execz .LBB2_54
; %bb.25:
	v_cmp_ne_u32_e32 vcc, 1, v16
	s_and_saveexec_b64 s[0:1], vcc
	s_xor_b64 s[6:7], exec, s[0:1]
	s_cbranch_execz .LBB2_62
; %bb.26:
	v_add_u32_e32 v19, 0xffffff80, v15
	v_ashrrev_i16_e32 v0, 15, v19
	v_lshrrev_b16_e32 v0, 10, v0
	v_add_u16_e32 v0, v19, v0
	v_and_b32_e32 v0, 0xffffffc0, v0
	v_sub_u16_e32 v17, v19, v0
	s_add_i32 s14, s50, 0xffffff80
	v_bfe_i32 v0, v17, 0, 16
	v_lshlrev_b64 v[8:9], v0, 1
	s_add_u32 s16, s36, 48
	s_movk_i32 s15, 0xffc0
	v_mul_u32_u24_e32 v18, 0x1010, v16
	v_lshl_add_u64 v[10:11], v[8:9], 0, -1
	s_addc_u32 s17, s37, 0
	s_mov_b32 s18, 0
	v_mov_b32_e32 v13, 0
	s_mov_b32 s8, s45
                                        ; implicit-def: $vgpr0_vgpr1_vgpr2_vgpr3
	s_branch .LBB2_29
.LBB2_27:                               ;   in Loop: Header=BB2_29 Depth=1
	s_or_b64 exec, exec, s[12:13]
	s_mov_b32 s11, s8
	v_mov_b32_e32 v4, v19
.LBB2_28:                               ;   in Loop: Header=BB2_29 Depth=1
	s_and_b64 vcc, exec, s[2:3]
	s_mov_b32 s8, s11
	v_mov_b32_e32 v19, v4
	s_cbranch_vccnz .LBB2_62
.LBB2_29:                               ; =>This Inner Loop Header: Depth=1
	s_ashr_i32 s9, s8, 31
	s_lshl_b64 s[0:1], s[8:9], 4
	s_add_u32 s0, s16, s0
	s_addc_u32 s1, s17, s1
	s_load_dwordx2 s[2:3], s[0:1], 0x8
	s_waitcnt lgkmcnt(0)
	v_and_b32_e32 v5, s3, v9
	v_and_b32_e32 v4, s2, v8
	v_cmp_ne_u64_e32 vcc, 0, v[4:5]
	s_and_saveexec_b64 s[10:11], vcc
	s_cbranch_execz .LBB2_31
; %bb.30:                               ;   in Loop: Header=BB2_29 Depth=1
	v_and_b32_e32 v5, s2, v10
	v_and_b32_e32 v4, s3, v11
	v_bcnt_u32_b32 v5, v5, 0
	v_bcnt_u32_b32 v4, v4, v5
	v_add_u32_e32 v4, v18, v4
	ds_write_b8 v4, v17
.LBB2_31:                               ;   in Loop: Header=BB2_29 Depth=1
	s_or_b64 exec, exec, s[10:11]
	s_load_dwordx2 s[10:11], s[0:1], 0x0
	s_bcnt1_i32_b64 s19, s[2:3]
	s_waitcnt lgkmcnt(0)
	s_bfe_u32 s9, s10, 0x2000f
	s_cmp_lt_i32 s9, 1
	s_cbranch_scc1 .LBB2_34
; %bb.32:                               ;   in Loop: Header=BB2_29 Depth=1
	s_cmp_lg_u32 s9, 1
	s_cbranch_scc0 .LBB2_35
; %bb.33:                               ;   in Loop: Header=BB2_29 Depth=1
	s_mov_b32 s21, 20
	v_mul_u32_u24_e64 v4, s19, 20
	s_movk_i32 s20, 0x140
	s_cbranch_execz .LBB2_36
	s_branch .LBB2_37
.LBB2_34:                               ;   in Loop: Header=BB2_29 Depth=1
                                        ; implicit-def: $vgpr4
                                        ; implicit-def: $sgpr20
                                        ; implicit-def: $sgpr21
	s_branch .LBB2_38
.LBB2_35:                               ;   in Loop: Header=BB2_29 Depth=1
                                        ; implicit-def: $vgpr4
                                        ; implicit-def: $sgpr20
                                        ; implicit-def: $sgpr21
.LBB2_36:                               ;   in Loop: Header=BB2_29 Depth=1
	s_lshl_b32 s0, s19, 3
	s_mov_b32 s21, 8
	s_movk_i32 s20, 0x80
	v_mov_b32_e32 v4, s0
.LBB2_37:                               ;   in Loop: Header=BB2_29 Depth=1
	s_cbranch_execnz .LBB2_39
.LBB2_38:                               ;   in Loop: Header=BB2_29 Depth=1
	s_lshl_b32 s0, s19, 2
	s_mov_b32 s20, 64
	s_mov_b32 s21, 4
	v_mov_b32_e32 v4, s0
.LBB2_39:                               ;   in Loop: Header=BB2_29 Depth=1
	v_cmp_eq_u32_e64 s[0:1], 0, v19
	s_and_saveexec_b64 s[2:3], s[0:1]
	s_cbranch_execz .LBB2_41
; %bb.40:                               ;   in Loop: Header=BB2_29 Depth=1
	v_mov_b32_e32 v5, s20
	ds_write_b32 v13, v5 offset:17008
	s_or_b64 exec, exec, s[2:3]
	v_cmp_lt_i32_e32 vcc, v19, v4
	s_and_saveexec_b64 s[12:13], vcc
	s_cbranch_execz .LBB2_49
	s_branch .LBB2_42
.LBB2_41:                               ;   in Loop: Header=BB2_29 Depth=1
	s_or_b64 exec, exec, s[2:3]
	v_cmp_lt_i32_e32 vcc, v19, v4
	s_and_saveexec_b64 s[12:13], vcc
	s_cbranch_execz .LBB2_49
.LBB2_42:                               ;   in Loop: Header=BB2_29 Depth=1
	v_cvt_f32_u32_e32 v4, s21
	s_sub_i32 s2, 0, s21
	v_sub_u32_e32 v6, 0, v19
	v_max_i32_e32 v6, v19, v6
	v_rcp_iflag_f32_e32 v4, v4
	v_ashrrev_i32_e32 v5, 31, v19
	v_mul_f32_e32 v4, 0x4f7ffffe, v4
	v_cvt_u32_f32_e32 v4, v4
	v_mul_lo_u32 v7, s2, v4
	v_mul_hi_u32 v7, v4, v7
	v_add_u32_e32 v4, v4, v7
	v_mul_hi_u32 v4, v6, v4
	v_mul_lo_u32 v7, v4, s21
	v_sub_u32_e32 v6, v6, v7
	v_add_u32_e32 v12, 1, v4
	v_cmp_le_u32_e32 vcc, s21, v6
	v_subrev_u32_e32 v7, s21, v6
	s_nop 0
	v_cndmask_b32_e32 v4, v4, v12, vcc
	v_cndmask_b32_e32 v6, v6, v7, vcc
	v_add_u32_e32 v7, 1, v4
	v_cmp_le_u32_e32 vcc, s21, v6
	s_nop 1
	v_cndmask_b32_e32 v4, v4, v7, vcc
	v_xor_b32_e32 v4, v4, v5
	v_sub_u32_e32 v20, v4, v5
	ds_read_u8 v5, v13 offset:16472
	v_add_u32_e32 v4, v18, v20
	ds_read_u8 v4, v4
	v_mul_lo_u32 v6, v20, s21
	v_sub_u32_e32 v21, v19, v6
	s_waitcnt lgkmcnt(1)
	v_cmp_ne_u16_e64 s[2:3], 0, v5
	s_and_b64 vcc, exec, s[2:3]
	s_cbranch_vccz .LBB2_45
; %bb.43:                               ;   in Loop: Header=BB2_29 Depth=1
	s_and_b64 vcc, exec, s[2:3]
	s_cbranch_vccz .LBB2_46
.LBB2_44:                               ;   in Loop: Header=BB2_29 Depth=1
	ds_read_b32 v5, v13 offset:16476
	ds_read_b64 v[6:7], v13 offset:16480
	s_waitcnt lgkmcnt(2)
	v_mul_u32_u24_e32 v4, s20, v4
	v_lshlrev_b32_e32 v14, 4, v21
	v_add3_u32 v4, v14, s11, v4
	s_waitcnt lgkmcnt(1)
	v_and_b32_e32 v12, v5, v4
	s_waitcnt lgkmcnt(0)
	v_lshl_add_u64 v[4:5], v[6:7], 0, v[12:13]
	flat_load_dwordx4 v[4:7], v[4:5]
	s_cbranch_execz .LBB2_47
	s_branch .LBB2_48
.LBB2_45:                               ;   in Loop: Header=BB2_29 Depth=1
	s_waitcnt lgkmcnt(0)
	v_mul_u32_u24_e32 v0, s20, v4
	v_lshlrev_b32_e32 v1, 4, v21
	v_add3_u32 v0, v1, s11, v0
	global_load_dwordx4 v[0:3], v0, s[36:37]
	s_and_b64 vcc, exec, s[2:3]
	s_cbranch_vccnz .LBB2_44
.LBB2_46:                               ;   in Loop: Header=BB2_29 Depth=1
                                        ; implicit-def: $vgpr4_vgpr5_vgpr6_vgpr7
                                        ; implicit-def: $vgpr14
.LBB2_47:                               ;   in Loop: Header=BB2_29 Depth=1
	s_waitcnt vmcnt(0) lgkmcnt(0)
	v_mov_b64_e32 v[6:7], v[2:3]
	v_lshlrev_b32_e32 v14, 4, v21
	v_mov_b64_e32 v[4:5], v[0:1]
.LBB2_48:                               ;   in Loop: Header=BB2_29 Depth=1
	s_waitcnt vmcnt(0)
	v_add_u32_e32 v0, s18, v20
	v_mad_u64_u32 v[0:1], s[2:3], v0, s20, v[14:15]
	s_waitcnt lgkmcnt(0)
	ds_write_b128 v0, v[4:7] offset:18704
	v_mov_b64_e32 v[0:1], v[4:5]
	v_mov_b64_e32 v[2:3], v[6:7]
.LBB2_49:                               ;   in Loop: Header=BB2_29 Depth=1
	s_or_b64 exec, exec, s[12:13]
	s_bitcmp0_b32 s10, 14
	s_cselect_b64 s[2:3], -1, 0
	s_and_b64 vcc, exec, s[2:3]
	s_cbranch_vccnz .LBB2_51
; %bb.50:                               ;   in Loop: Header=BB2_29 Depth=1
	v_mov_b32_e32 v4, s14
	v_cmp_gt_i32_e32 vcc, 64, v19
	s_and_b32 s11, s10, 0x3fff
	s_add_i32 s11, s11, s8
	v_cndmask_b32_e32 v4, 0, v4, vcc
	v_add3_u32 v4, v19, v4, s15
	s_add_i32 s18, s18, s19
	s_cbranch_execnz .LBB2_28
	s_branch .LBB2_52
.LBB2_51:                               ;   in Loop: Header=BB2_29 Depth=1
                                        ; implicit-def: $vgpr4
                                        ; implicit-def: $sgpr11
	s_add_i32 s18, s18, s19
.LBB2_52:                               ;   in Loop: Header=BB2_29 Depth=1
	s_and_saveexec_b64 s[12:13], s[0:1]
	s_cbranch_execz .LBB2_27
; %bb.53:                               ;   in Loop: Header=BB2_29 Depth=1
	s_and_b32 s0, s10, 0x3fff
	s_add_i32 s1, s0, s8
	s_cmp_lg_u32 s0, 0
	s_cselect_b32 s0, s1, -1
	v_mov_b32_e32 v4, s8
	v_mov_b32_e32 v5, s0
	ds_write_b64 v13, v[4:5] offset:16992
	v_mov_b32_e32 v4, s9
	ds_write_b8 v13, v4 offset:17000
	v_mov_b32_e32 v4, s18
	s_lshr_b32 s0, s10, 17
	ds_write_b32 v13, v4 offset:17004
	v_mov_b32_e32 v4, s0
	v_mov_b32_e32 v19, 0
	ds_write_b16 v13, v4 offset:17002
	s_branch .LBB2_27
.LBB2_54:
	s_andn2_saveexec_b64 s[2:3], s[4:5]
	s_cbranch_execz .LBB2_67
.LBB2_55:
	v_cmp_gt_u32_e32 vcc, 6, v15
	s_mov_b64 s[6:7], s[0:1]
                                        ; implicit-def: $vgpr0_vgpr1
                                        ; implicit-def: $vgpr2
	s_and_saveexec_b64 s[4:5], vcc
	s_cbranch_execz .LBB2_57
; %bb.56:
	v_mov_b32_e32 v1, 0
	ds_read_b64 v[4:5], v1 offset:16448
	v_lshlrev_b32_e32 v0, 4, v15
	v_add_u32_e32 v2, 0x4080, v0
	s_or_b64 s[6:7], s[0:1], exec
	s_waitcnt lgkmcnt(0)
	v_lshl_add_u64 v[0:1], v[4:5], 0, v[0:1]
.LBB2_57:
	s_or_b64 exec, exec, s[4:5]
	s_andn2_b64 s[0:1], s[0:1], exec
	s_and_b64 s[4:5], s[6:7], exec
	s_or_b64 s[0:1], s[0:1], s[4:5]
	s_or_b64 exec, exec, s[2:3]
	s_and_saveexec_b64 s[2:3], s[0:1]
	s_cbranch_execnz .LBB2_68
	s_branch .LBB2_69
.LBB2_58:
	s_or_b64 exec, exec, s[6:7]
	v_mov_b32_e32 v4, s10
	s_and_saveexec_b64 s[6:7], s[8:9]
	s_cbranch_execz .LBB2_19
.LBB2_59:
	s_load_dwordx2 s[12:13], s[36:37], 0x10
	s_mov_b64 s[8:9], 0
                                        ; implicit-def: $sgpr15
	s_waitcnt lgkmcnt(0)
	v_and_b32_e32 v3, s13, v3
	v_and_b32_e32 v2, s12, v2
	v_cmp_ne_u64_e32 vcc, 0, v[2:3]
	s_and_saveexec_b64 s[10:11], vcc
	s_xor_b64 s[10:11], exec, s[10:11]
; %bb.60:
	v_and_b32_e32 v0, s12, v0
	v_and_b32_e32 v1, s13, v1
	v_bcnt_u32_b32 v0, v0, 0
	s_bcnt1_i32_b64 s15, s[4:5]
	v_bcnt_u32_b32 v0, v1, v0
	v_add_u32_e32 v0, s15, v0
	v_cmp_eq_u32_e32 vcc, s45, v0
	s_and_b64 s[8:9], vcc, exec
; %bb.61:
	s_or_b64 exec, exec, s[10:11]
	s_andn2_b64 s[2:3], s[2:3], exec
	s_and_b64 s[4:5], s[8:9], exec
	v_mov_b32_e32 v4, s15
	s_or_b64 s[2:3], s[2:3], s[4:5]
	s_or_b64 exec, exec, s[6:7]
	s_and_saveexec_b64 s[4:5], s[2:3]
	s_cbranch_execnz .LBB2_20
	s_branch .LBB2_21
.LBB2_62:
	s_or_saveexec_b64 s[0:1], s[6:7]
	s_mov_b64 s[2:3], 0
                                        ; implicit-def: $vgpr0_vgpr1
                                        ; implicit-def: $vgpr2
	s_xor_b64 exec, exec, s[0:1]
	s_cbranch_execz .LBB2_66
; %bb.63:
	s_movk_i32 s2, 0x58
	v_cmp_gt_u32_e32 vcc, s2, v15
	s_mov_b64 s[2:3], 0
                                        ; implicit-def: $vgpr0_vgpr1
                                        ; implicit-def: $vgpr2
	s_and_saveexec_b64 s[6:7], vcc
	s_xor_b64 s[6:7], exec, s[6:7]
	s_cbranch_execz .LBB2_65
; %bb.64:
	v_mov_b32_e32 v0, 0
	ds_read_b32 v2, v0 offset:16496
	ds_read_b64 v[0:1], v0 offset:16448
	s_movk_i32 s8, 0x180
	v_lshlrev_b32_e32 v4, 4, v15
	s_mov_b64 s[2:3], exec
	s_waitcnt lgkmcnt(1)
	v_mul_hi_i32 v3, v2, s8
	v_mul_lo_u32 v2, v2, s8
	s_waitcnt lgkmcnt(0)
	v_lshl_add_u64 v[0:1], v[0:1], 0, v[2:3]
	s_mov_b64 s[8:9], 0x60
	v_add_u32_e32 v2, 0xfffffc00, v4
	v_lshl_add_u64 v[0:1], v[0:1], 0, s[8:9]
	v_ashrrev_i32_e32 v3, 31, v2
	v_lshl_add_u64 v[0:1], v[0:1], 0, v[2:3]
	v_add_u32_e32 v2, 0x3ce0, v4
.LBB2_65:
	s_or_b64 exec, exec, s[6:7]
	s_and_b64 s[2:3], s[2:3], exec
.LBB2_66:
	s_or_b64 exec, exec, s[0:1]
	s_and_b64 s[0:1], s[2:3], exec
	s_andn2_saveexec_b64 s[2:3], s[4:5]
	s_cbranch_execnz .LBB2_55
.LBB2_67:
	s_or_b64 exec, exec, s[2:3]
	s_and_saveexec_b64 s[2:3], s[0:1]
	s_cbranch_execz .LBB2_69
.LBB2_68:
	flat_load_dwordx2 v[4:5], v[0:1]
	s_waitcnt vmcnt(0) lgkmcnt(0)
	ds_write_b64 v2, v[4:5]
	flat_load_dwordx2 v[0:1], v[0:1] offset:8
	s_waitcnt vmcnt(0) lgkmcnt(0)
	ds_write_b64 v2, v[0:1] offset:8
.LBB2_69:
	s_or_b64 exec, exec, s[2:3]
	v_mov_b32_e32 v43, 0
	s_waitcnt lgkmcnt(0)
	s_barrier
	ds_read_b32 v0, v43 offset:16500
	s_waitcnt lgkmcnt(0)
	v_cmp_ne_u32_e32 vcc, 0, v0
	s_cbranch_vccz .LBB2_82
.LBB2_70:
	s_and_saveexec_b64 s[0:1], s[40:41]
	s_cbranch_execz .LBB2_81
; %bb.71:
	v_mov_b32_e32 v5, 0
	ds_read_b64 v[2:3], v5 offset:16976
	ds_read_b32 v6, v5 offset:17004
	s_waitcnt lgkmcnt(0)
	v_lshl_add_u64 v[0:1], v[2:3], 0, 1
	v_ashrrev_i32_e32 v7, 31, v6
	v_lshl_add_u64 v[8:9], v[2:3], 0, v[6:7]
	v_cmp_gt_u64_e32 vcc, v[0:1], v[8:9]
	s_cbranch_vccnz .LBB2_80
; %bb.72:
	ds_read_u8 v10, v5 offset:17000
	s_movk_i32 s2, 0x494e
	s_movk_i32 s3, 0x491a
	s_branch .LBB2_74
.LBB2_73:                               ;   in Loop: Header=BB2_74 Depth=1
	s_waitcnt lgkmcnt(0)
	v_ashrrev_i32_e32 v7, 31, v6
	v_lshl_add_u64 v[0:1], v[0:1], 0, 1
	v_lshl_add_u64 v[8:9], v[2:3], 0, v[6:7]
	v_cmp_le_u64_e32 vcc, v[0:1], v[8:9]
	s_add_i32 s2, s2, 64
	s_addk_i32 s3, 0x80
	s_cbranch_vccz .LBB2_80
.LBB2_74:                               ; =>This Inner Loop Header: Depth=1
	s_waitcnt lgkmcnt(0)
	v_cmp_ne_u16_sdwa s[0:1], v10, v5 src0_sel:BYTE_0 src1_sel:DWORD
	s_and_b64 vcc, exec, s[0:1]
	s_cbranch_vccz .LBB2_79
; %bb.75:                               ;   in Loop: Header=BB2_74 Depth=1
	v_mov_b32_e32 v4, s3
	ds_read_u8 v4, v4
	s_waitcnt lgkmcnt(0)
	v_and_b32_e32 v4, 1, v4
	s_cbranch_execnz .LBB2_77
.LBB2_76:                               ;   in Loop: Header=BB2_74 Depth=1
	v_mov_b32_e32 v4, s2
	ds_read_u16 v4, v4
	s_waitcnt lgkmcnt(0)
	v_bfe_u32 v4, v4, 6, 1
.LBB2_77:                               ;   in Loop: Header=BB2_74 Depth=1
	v_cmp_eq_u32_e32 vcc, 0, v4
	s_cbranch_vccnz .LBB2_73
; %bb.78:                               ;   in Loop: Header=BB2_74 Depth=1
	s_memrealtime s[0:1]
	ds_read_u8 v10, v5 offset:17000
	ds_read_b32 v2, v5 offset:16496
	ds_read_b64 v[6:7], v5 offset:16600
	v_and_b32_e32 v4, 63, v0
	v_lshlrev_b32_e32 v4, 4, v4
	s_waitcnt lgkmcnt(0)
	v_ashrrev_i32_e32 v3, 31, v2
	v_lshlrev_b64 v[2:3], 10, v[2:3]
	v_lshl_add_u64 v[2:3], v[6:7], 0, v[2:3]
	v_lshl_add_u64 v[6:7], v[2:3], 0, v[4:5]
	v_mov_b32_e32 v2, s0
	v_mov_b32_e32 v3, s1
	flat_store_dwordx4 v[6:7], v[0:3]
	ds_read_b64 v[2:3], v5 offset:16976
	ds_read_b32 v6, v5 offset:17004
	s_branch .LBB2_73
.LBB2_79:                               ;   in Loop: Header=BB2_74 Depth=1
                                        ; implicit-def: $vgpr4
	s_branch .LBB2_76
.LBB2_80:
	v_mov_b32_e32 v2, 0
	ds_read_b32 v4, v2 offset:16496
	ds_read_b64 v[0:1], v2 offset:16448
	s_movk_i32 s0, 0x180
	ds_write_b64 v2, v[8:9] offset:16976
	s_waitcnt lgkmcnt(0)
	v_mul_hi_i32 v3, v4, s0
	v_mul_lo_u32 v2, v4, s0
	v_lshl_add_u64 v[0:1], v[0:1], 0, v[2:3]
	flat_store_dwordx2 v[0:1], v[8:9] offset:464
.LBB2_81:
	s_endpgm
.LBB2_82:
	s_movk_i32 s0, 0x44
	v_cmp_eq_u32_e32 vcc, 1, v16
	v_cmp_gt_u32_e64 s[0:1], s0, v15
	s_and_b64 s[46:47], s[0:1], vcc
	s_movk_i32 s0, 0x160
	v_mov_b32_e32 v0, 0xffffeb98
	v_lshlrev_b64 v[44:45], v15, 1
	s_add_u32 s51, s36, 48
	v_cmp_eq_u32_e64 s[42:43], 64, v15
	v_mad_u32_u24 v41, v15, s0, v0
	v_and_b32_e32 v56, 63, v15
	v_mul_u32_u24_e32 v57, 0x1010, v16
	v_lshl_add_u64 v[46:47], v[44:45], 0, -1
	s_addc_u32 s52, s37, 0
	s_movk_i32 s53, 0x58
	s_movk_i32 s54, 0xffc0
	v_mov_b32_e32 v58, 0xb1
	v_mov_b32_e32 v59, 0xb0
	;; [unrolled: 1-line block ×20, first 2 shown]
	s_branch .LBB2_84
.LBB2_83:                               ;   in Loop: Header=BB2_84 Depth=1
	s_waitcnt lgkmcnt(0)
	s_barrier
	ds_read_b32 v0, v43 offset:16500
	s_waitcnt lgkmcnt(0)
	v_readfirstlane_b32 s0, v0
	s_cmp_lg_u32 s0, 0
	s_cselect_b64 s[0:1], -1, 0
	s_and_b64 vcc, exec, s[0:1]
	s_cbranch_vccnz .LBB2_70
.LBB2_84:                               ; =>This Loop Header: Depth=1
                                        ;     Child Loop BB2_88 Depth 2
                                        ;     Child Loop BB2_743 Depth 2
	;; [unrolled: 1-line block ×3, first 2 shown]
	s_and_saveexec_b64 s[0:1], s[40:41]
	s_cbranch_execz .LBB2_94
; %bb.85:                               ;   in Loop: Header=BB2_84 Depth=1
	ds_read_b64 v[2:3], v43 offset:16976
	ds_read_b32 v4, v43 offset:17004
	s_waitcnt lgkmcnt(0)
	v_lshl_add_u64 v[0:1], v[2:3], 0, 1
	s_waitcnt lgkmcnt(0)
	v_ashrrev_i32_e32 v5, 31, v4
	v_lshl_add_u64 v[6:7], v[2:3], 0, v[4:5]
	v_cmp_gt_u64_e32 vcc, v[0:1], v[6:7]
	s_cbranch_vccnz .LBB2_94
; %bb.86:                               ;   in Loop: Header=BB2_84 Depth=1
	ds_read_u8 v6, v43 offset:17000
	s_movk_i32 s4, 0x494e
	s_movk_i32 s5, 0x491a
	s_branch .LBB2_88
.LBB2_87:                               ;   in Loop: Header=BB2_88 Depth=2
	s_waitcnt lgkmcnt(0)
	v_ashrrev_i32_e32 v5, 31, v4
	v_lshl_add_u64 v[0:1], v[0:1], 0, 1
	v_lshl_add_u64 v[8:9], v[2:3], 0, v[4:5]
	v_cmp_le_u64_e32 vcc, v[0:1], v[8:9]
	s_add_i32 s4, s4, 64
	s_addk_i32 s5, 0x80
	s_cbranch_vccz .LBB2_94
.LBB2_88:                               ;   Parent Loop BB2_84 Depth=1
                                        ; =>  This Inner Loop Header: Depth=2
	s_waitcnt lgkmcnt(0)
	v_cmp_ne_u16_sdwa s[2:3], v6, v43 src0_sel:BYTE_0 src1_sel:DWORD
	s_and_b64 vcc, exec, s[2:3]
	s_cbranch_vccz .LBB2_93
; %bb.89:                               ;   in Loop: Header=BB2_88 Depth=2
	v_mov_b32_e32 v5, s5
	ds_read_u8 v5, v5
	s_waitcnt lgkmcnt(0)
	v_and_b32_e32 v5, 1, v5
	s_cbranch_execnz .LBB2_91
.LBB2_90:                               ;   in Loop: Header=BB2_88 Depth=2
	v_mov_b32_e32 v5, s4
	ds_read_u16 v5, v5
	s_waitcnt lgkmcnt(0)
	v_bfe_u32 v5, v5, 6, 1
.LBB2_91:                               ;   in Loop: Header=BB2_88 Depth=2
	v_cmp_eq_u32_e32 vcc, 0, v5
	s_cbranch_vccnz .LBB2_87
; %bb.92:                               ;   in Loop: Header=BB2_88 Depth=2
	s_memrealtime s[2:3]
	ds_read_u8 v6, v43 offset:17000
	ds_read_b32 v2, v43 offset:16496
	ds_read_b64 v[4:5], v43 offset:16592
	v_and_b32_e32 v7, 63, v0
	v_lshlrev_b32_e32 v42, 4, v7
	s_waitcnt lgkmcnt(0)
	v_ashrrev_i32_e32 v3, 31, v2
	v_lshlrev_b64 v[2:3], 10, v[2:3]
	v_lshl_add_u64 v[2:3], v[4:5], 0, v[2:3]
	v_lshl_add_u64 v[4:5], v[2:3], 0, v[42:43]
	v_mov_b32_e32 v2, s2
	v_mov_b32_e32 v3, s3
	flat_store_dwordx4 v[4:5], v[0:3]
	ds_read_b64 v[2:3], v43 offset:16976
	ds_read_b32 v4, v43 offset:17004
	s_branch .LBB2_87
.LBB2_93:                               ;   in Loop: Header=BB2_88 Depth=2
                                        ; implicit-def: $vgpr5
	s_branch .LBB2_90
.LBB2_94:                               ;   in Loop: Header=BB2_84 Depth=1
	s_or_b64 exec, exec, s[0:1]
	ds_read_u16 v0, v43 offset:17002
	s_mov_b64 s[0:1], -1
	s_waitcnt lgkmcnt(0)
	v_cmp_lt_u32_e32 vcc, s53, v0
	v_readfirstlane_b32 s55, v0
	s_cbranch_vccz .LBB2_423
; %bb.95:                               ;   in Loop: Header=BB2_84 Depth=1
	s_cmpk_gt_u32 s55, 0x85
	s_cbranch_scc0 .LBB2_260
; %bb.96:                               ;   in Loop: Header=BB2_84 Depth=1
	s_cmpk_gt_u32 s55, 0x9b
	s_cbranch_scc0 .LBB2_181
	;; [unrolled: 3-line block ×5, first 2 shown]
; %bb.100:                              ;   in Loop: Header=BB2_84 Depth=1
	v_cmp_lt_i16_e32 vcc, s55, v58
	s_mov_b64 s[2:3], -1
	s_mov_b64 s[48:49], 0
	s_mov_b64 s[0:1], 0
	s_cbranch_vccnz .LBB2_106
; %bb.101:                              ;   in Loop: Header=BB2_84 Depth=1
	v_cmp_eq_u16_e32 vcc, s55, v58
	s_mov_b64 s[0:1], -1
	s_cbranch_vccz .LBB2_103
; %bb.102:                              ;   in Loop: Header=BB2_84 Depth=1
	s_add_u32 s8, s36, 0x1000
	s_addc_u32 s9, s37, 0
	s_mov_b64 s[4:5], s[38:39]
	s_mov_b64 s[10:11], s[34:35]
	s_mov_b32 s12, s45
	s_mov_b32 s13, s44
	;; [unrolled: 1-line block ×3, first 2 shown]
	v_mov_b32_e32 v31, v40
	s_getpc_b64 s[0:1]
	s_add_u32 s0, s0, _Z45ncclDevFunc_SendRecv_RING_SIMPLE_Sum_i8_0_0_4v@rel32@lo+4
	s_addc_u32 s1, s1, _Z45ncclDevFunc_SendRecv_RING_SIMPLE_Sum_i8_0_0_4v@rel32@hi+12
	s_swappc_b64 s[30:31], s[0:1]
	s_mov_b64 s[0:1], 0
.LBB2_103:                              ;   in Loop: Header=BB2_84 Depth=1
.LBB2_104:                              ;   in Loop: Header=BB2_84 Depth=1
	s_andn2_b64 vcc, exec, s[0:1]
	s_cbranch_vccnz .LBB2_108
.LBB2_105:                              ;   in Loop: Header=BB2_84 Depth=1
	s_add_u32 s8, s36, 0x1000
	s_addc_u32 s9, s37, 0
	s_mov_b64 s[4:5], s[38:39]
	s_mov_b64 s[10:11], s[34:35]
	s_mov_b32 s12, s45
	s_mov_b32 s13, s44
	s_mov_b32 s14, s33
	v_mov_b32_e32 v31, v40
	s_getpc_b64 s[0:1]
	s_add_u32 s0, s0, _Z50ncclDevFunc_AlltoAllPivot_RING_SIMPLE_Sum_i8_0_0_4v@rel32@lo+4
	s_addc_u32 s1, s1, _Z50ncclDevFunc_AlltoAllPivot_RING_SIMPLE_Sum_i8_0_0_4v@rel32@hi+12
	s_swappc_b64 s[30:31], s[0:1]
	s_cbranch_execz .LBB2_109
	s_branch .LBB2_110
.LBB2_106:                              ;   in Loop: Header=BB2_84 Depth=1
	s_and_b64 vcc, exec, s[2:3]
	s_cbranch_vccz .LBB2_104
; %bb.107:                              ;   in Loop: Header=BB2_84 Depth=1
	v_cmp_ne_u16_e64 s[0:1], s55, v59
	s_mov_b64 s[48:49], -1
	s_andn2_b64 vcc, exec, s[0:1]
	s_cbranch_vccz .LBB2_105
.LBB2_108:                              ;   in Loop: Header=BB2_84 Depth=1
	s_andn2_b64 vcc, exec, s[48:49]
	s_cbranch_vccnz .LBB2_110
.LBB2_109:                              ;   in Loop: Header=BB2_84 Depth=1
	s_add_u32 s8, s36, 0x1000
	s_addc_u32 s9, s37, 0
	s_mov_b64 s[4:5], s[38:39]
	s_mov_b64 s[10:11], s[34:35]
	s_mov_b32 s12, s45
	s_mov_b32 s13, s44
	;; [unrolled: 1-line block ×3, first 2 shown]
	v_mov_b32_e32 v31, v40
	s_getpc_b64 s[0:1]
	s_add_u32 s0, s0, _Z54ncclDevFunc_AllReduce_RING_SIMPLE_SumPostDiv_u64_1_0_4v@rel32@lo+4
	s_addc_u32 s1, s1, _Z54ncclDevFunc_AllReduce_RING_SIMPLE_SumPostDiv_u64_1_0_4v@rel32@hi+12
	s_swappc_b64 s[30:31], s[0:1]
.LBB2_110:                              ;   in Loop: Header=BB2_84 Depth=1
	s_mov_b64 s[0:1], 0
.LBB2_111:                              ;   in Loop: Header=BB2_84 Depth=1
	s_and_b64 vcc, exec, s[0:1]
	s_cbranch_vccz .LBB2_120
; %bb.112:                              ;   in Loop: Header=BB2_84 Depth=1
	v_mov_b32_e32 v0, 0xae
	v_cmp_lt_i16_sdwa s[2:3], s55, v0 src0_sel:BYTE_0 src1_sel:DWORD
	s_mov_b64 s[0:1], -1
	s_and_b64 vcc, exec, s[2:3]
	s_cbranch_vccnz .LBB2_118
; %bb.113:                              ;   in Loop: Header=BB2_84 Depth=1
	v_cmp_ne_u16_sdwa s[2:3], s55, v0 src0_sel:BYTE_0 src1_sel:DWORD
	s_and_b64 vcc, exec, s[2:3]
	s_cbranch_vccz .LBB2_115
; %bb.114:                              ;   in Loop: Header=BB2_84 Depth=1
	s_add_u32 s8, s36, 0x1000
	s_addc_u32 s9, s37, 0
	s_mov_b64 s[4:5], s[38:39]
	s_mov_b64 s[10:11], s[34:35]
	s_mov_b32 s12, s45
	s_mov_b32 s13, s44
	s_mov_b32 s14, s33
	v_mov_b32_e32 v31, v40
	s_getpc_b64 s[0:1]
	s_add_u32 s0, s0, _Z54ncclDevFunc_AllReduce_RING_SIMPLE_SumPostDiv_u64_0_0_4v@rel32@lo+4
	s_addc_u32 s1, s1, _Z54ncclDevFunc_AllReduce_RING_SIMPLE_SumPostDiv_u64_0_0_4v@rel32@hi+12
	s_swappc_b64 s[30:31], s[0:1]
	s_mov_b64 s[0:1], 0
.LBB2_115:                              ;   in Loop: Header=BB2_84 Depth=1
	s_andn2_b64 vcc, exec, s[0:1]
	s_cbranch_vccnz .LBB2_117
; %bb.116:                              ;   in Loop: Header=BB2_84 Depth=1
	s_add_u32 s8, s36, 0x1000
	s_addc_u32 s9, s37, 0
	s_mov_b64 s[4:5], s[38:39]
	s_mov_b64 s[10:11], s[34:35]
	s_mov_b32 s12, s45
	s_mov_b32 s13, s44
	;; [unrolled: 1-line block ×3, first 2 shown]
	v_mov_b32_e32 v31, v40
	s_getpc_b64 s[0:1]
	s_add_u32 s0, s0, _Z54ncclDevFunc_AllReduce_RING_SIMPLE_SumPostDiv_u32_1_0_4v@rel32@lo+4
	s_addc_u32 s1, s1, _Z54ncclDevFunc_AllReduce_RING_SIMPLE_SumPostDiv_u32_1_0_4v@rel32@hi+12
	s_swappc_b64 s[30:31], s[0:1]
.LBB2_117:                              ;   in Loop: Header=BB2_84 Depth=1
	s_mov_b64 s[0:1], 0
.LBB2_118:                              ;   in Loop: Header=BB2_84 Depth=1
	s_andn2_b64 vcc, exec, s[0:1]
	s_cbranch_vccnz .LBB2_120
; %bb.119:                              ;   in Loop: Header=BB2_84 Depth=1
	s_add_u32 s8, s36, 0x1000
	s_addc_u32 s9, s37, 0
	s_mov_b64 s[4:5], s[38:39]
	s_mov_b64 s[10:11], s[34:35]
	s_mov_b32 s12, s45
	s_mov_b32 s13, s44
	s_mov_b32 s14, s33
	v_mov_b32_e32 v31, v40
	s_getpc_b64 s[0:1]
	s_add_u32 s0, s0, _Z54ncclDevFunc_AllReduce_RING_SIMPLE_SumPostDiv_u32_0_0_4v@rel32@lo+4
	s_addc_u32 s1, s1, _Z54ncclDevFunc_AllReduce_RING_SIMPLE_SumPostDiv_u32_0_0_4v@rel32@hi+12
	s_swappc_b64 s[30:31], s[0:1]
.LBB2_120:                              ;   in Loop: Header=BB2_84 Depth=1
	s_mov_b64 s[0:1], 0
.LBB2_121:                              ;   in Loop: Header=BB2_84 Depth=1
	s_andn2_b64 vcc, exec, s[0:1]
	s_cbranch_vccnz .LBB2_141
; %bb.122:                              ;   in Loop: Header=BB2_84 Depth=1
	s_cmpk_gt_u32 s55, 0xa9
	s_mov_b64 s[0:1], -1
	s_cbranch_scc0 .LBB2_132
; %bb.123:                              ;   in Loop: Header=BB2_84 Depth=1
	v_mov_b32_e32 v0, 0xab
	v_cmp_lt_i16_sdwa s[2:3], s55, v0 src0_sel:BYTE_0 src1_sel:DWORD
	s_and_b64 vcc, exec, s[2:3]
	s_cbranch_vccnz .LBB2_129
; %bb.124:                              ;   in Loop: Header=BB2_84 Depth=1
	v_cmp_ne_u16_sdwa s[2:3], s55, v0 src0_sel:BYTE_0 src1_sel:DWORD
	s_and_b64 vcc, exec, s[2:3]
	s_cbranch_vccz .LBB2_126
; %bb.125:                              ;   in Loop: Header=BB2_84 Depth=1
	s_add_u32 s8, s36, 0x1000
	s_addc_u32 s9, s37, 0
	s_mov_b64 s[4:5], s[38:39]
	s_mov_b64 s[10:11], s[34:35]
	s_mov_b32 s12, s45
	s_mov_b32 s13, s44
	;; [unrolled: 1-line block ×3, first 2 shown]
	v_mov_b32_e32 v31, v40
	s_getpc_b64 s[0:1]
	s_add_u32 s0, s0, _Z53ncclDevFunc_AllReduce_RING_SIMPLE_SumPostDiv_u8_1_0_4v@rel32@lo+4
	s_addc_u32 s1, s1, _Z53ncclDevFunc_AllReduce_RING_SIMPLE_SumPostDiv_u8_1_0_4v@rel32@hi+12
	s_swappc_b64 s[30:31], s[0:1]
	s_mov_b64 s[0:1], 0
.LBB2_126:                              ;   in Loop: Header=BB2_84 Depth=1
	s_andn2_b64 vcc, exec, s[0:1]
	s_cbranch_vccnz .LBB2_128
; %bb.127:                              ;   in Loop: Header=BB2_84 Depth=1
	s_add_u32 s8, s36, 0x1000
	s_addc_u32 s9, s37, 0
	s_mov_b64 s[4:5], s[38:39]
	s_mov_b64 s[10:11], s[34:35]
	s_mov_b32 s12, s45
	s_mov_b32 s13, s44
	;; [unrolled: 1-line block ×3, first 2 shown]
	v_mov_b32_e32 v31, v40
	s_getpc_b64 s[0:1]
	s_add_u32 s0, s0, _Z53ncclDevFunc_AllReduce_RING_SIMPLE_SumPostDiv_u8_0_0_4v@rel32@lo+4
	s_addc_u32 s1, s1, _Z53ncclDevFunc_AllReduce_RING_SIMPLE_SumPostDiv_u8_0_0_4v@rel32@hi+12
	s_swappc_b64 s[30:31], s[0:1]
.LBB2_128:                              ;   in Loop: Header=BB2_84 Depth=1
	s_mov_b64 s[0:1], 0
.LBB2_129:                              ;   in Loop: Header=BB2_84 Depth=1
	s_andn2_b64 vcc, exec, s[0:1]
	s_cbranch_vccnz .LBB2_131
; %bb.130:                              ;   in Loop: Header=BB2_84 Depth=1
	s_add_u32 s8, s36, 0x1000
	s_addc_u32 s9, s37, 0
	s_mov_b64 s[4:5], s[38:39]
	s_mov_b64 s[10:11], s[34:35]
	s_mov_b32 s12, s45
	s_mov_b32 s13, s44
	;; [unrolled: 1-line block ×3, first 2 shown]
	v_mov_b32_e32 v31, v40
	s_getpc_b64 s[0:1]
	s_add_u32 s0, s0, _Z56ncclDevFunc_AllReduce_RING_SIMPLE_PreMulSum_f8e5m2_1_0_4v@rel32@lo+4
	s_addc_u32 s1, s1, _Z56ncclDevFunc_AllReduce_RING_SIMPLE_PreMulSum_f8e5m2_1_0_4v@rel32@hi+12
	s_swappc_b64 s[30:31], s[0:1]
.LBB2_131:                              ;   in Loop: Header=BB2_84 Depth=1
	s_mov_b64 s[0:1], 0
.LBB2_132:                              ;   in Loop: Header=BB2_84 Depth=1
	s_and_b64 vcc, exec, s[0:1]
	s_cbranch_vccz .LBB2_141
; %bb.133:                              ;   in Loop: Header=BB2_84 Depth=1
	v_mov_b32_e32 v0, 0xa8
	v_cmp_lt_i16_sdwa s[2:3], s55, v0 src0_sel:BYTE_0 src1_sel:DWORD
	s_mov_b64 s[0:1], -1
	s_and_b64 vcc, exec, s[2:3]
	s_cbranch_vccnz .LBB2_139
; %bb.134:                              ;   in Loop: Header=BB2_84 Depth=1
	v_cmp_ne_u16_sdwa s[2:3], s55, v0 src0_sel:BYTE_0 src1_sel:DWORD
	s_and_b64 vcc, exec, s[2:3]
	s_cbranch_vccz .LBB2_136
; %bb.135:                              ;   in Loop: Header=BB2_84 Depth=1
	s_add_u32 s8, s36, 0x1000
	s_addc_u32 s9, s37, 0
	s_mov_b64 s[4:5], s[38:39]
	s_mov_b64 s[10:11], s[34:35]
	s_mov_b32 s12, s45
	s_mov_b32 s13, s44
	;; [unrolled: 1-line block ×3, first 2 shown]
	v_mov_b32_e32 v31, v40
	s_getpc_b64 s[0:1]
	s_add_u32 s0, s0, _Z56ncclDevFunc_AllReduce_RING_SIMPLE_PreMulSum_f8e5m2_0_0_4v@rel32@lo+4
	s_addc_u32 s1, s1, _Z56ncclDevFunc_AllReduce_RING_SIMPLE_PreMulSum_f8e5m2_0_0_4v@rel32@hi+12
	s_swappc_b64 s[30:31], s[0:1]
	s_mov_b64 s[0:1], 0
.LBB2_136:                              ;   in Loop: Header=BB2_84 Depth=1
	s_andn2_b64 vcc, exec, s[0:1]
	s_cbranch_vccnz .LBB2_138
; %bb.137:                              ;   in Loop: Header=BB2_84 Depth=1
	s_add_u32 s8, s36, 0x1000
	s_addc_u32 s9, s37, 0
	s_mov_b64 s[4:5], s[38:39]
	s_mov_b64 s[10:11], s[34:35]
	s_mov_b32 s12, s45
	s_mov_b32 s13, s44
	;; [unrolled: 1-line block ×3, first 2 shown]
	v_mov_b32_e32 v31, v40
	s_getpc_b64 s[0:1]
	s_add_u32 s0, s0, _Z56ncclDevFunc_AllReduce_RING_SIMPLE_PreMulSum_f8e4m3_1_0_4v@rel32@lo+4
	s_addc_u32 s1, s1, _Z56ncclDevFunc_AllReduce_RING_SIMPLE_PreMulSum_f8e4m3_1_0_4v@rel32@hi+12
	s_swappc_b64 s[30:31], s[0:1]
.LBB2_138:                              ;   in Loop: Header=BB2_84 Depth=1
	s_mov_b64 s[0:1], 0
.LBB2_139:                              ;   in Loop: Header=BB2_84 Depth=1
	s_andn2_b64 vcc, exec, s[0:1]
	s_cbranch_vccnz .LBB2_141
; %bb.140:                              ;   in Loop: Header=BB2_84 Depth=1
	s_add_u32 s8, s36, 0x1000
	s_addc_u32 s9, s37, 0
	s_mov_b64 s[4:5], s[38:39]
	s_mov_b64 s[10:11], s[34:35]
	s_mov_b32 s12, s45
	s_mov_b32 s13, s44
	;; [unrolled: 1-line block ×3, first 2 shown]
	v_mov_b32_e32 v31, v40
	s_getpc_b64 s[0:1]
	s_add_u32 s0, s0, _Z56ncclDevFunc_AllReduce_RING_SIMPLE_PreMulSum_f8e4m3_0_0_4v@rel32@lo+4
	s_addc_u32 s1, s1, _Z56ncclDevFunc_AllReduce_RING_SIMPLE_PreMulSum_f8e4m3_0_0_4v@rel32@hi+12
	s_swappc_b64 s[30:31], s[0:1]
.LBB2_141:                              ;   in Loop: Header=BB2_84 Depth=1
	s_mov_b64 s[0:1], 0
.LBB2_142:                              ;   in Loop: Header=BB2_84 Depth=1
	s_andn2_b64 vcc, exec, s[0:1]
	s_cbranch_vccnz .LBB2_180
; %bb.143:                              ;   in Loop: Header=BB2_84 Depth=1
	s_cmpk_gt_u32 s55, 0xa0
	s_mov_b64 s[0:1], -1
	s_cbranch_scc0 .LBB2_164
; %bb.144:                              ;   in Loop: Header=BB2_84 Depth=1
	s_cmpk_gt_u32 s55, 0xa3
	s_cbranch_scc0 .LBB2_154
; %bb.145:                              ;   in Loop: Header=BB2_84 Depth=1
	v_mov_b32_e32 v0, 0xa5
	v_cmp_lt_i16_sdwa s[2:3], s55, v0 src0_sel:BYTE_0 src1_sel:DWORD
	s_and_b64 vcc, exec, s[2:3]
	s_cbranch_vccnz .LBB2_151
; %bb.146:                              ;   in Loop: Header=BB2_84 Depth=1
	v_cmp_ne_u16_sdwa s[2:3], s55, v0 src0_sel:BYTE_0 src1_sel:DWORD
	s_and_b64 vcc, exec, s[2:3]
	s_cbranch_vccz .LBB2_148
; %bb.147:                              ;   in Loop: Header=BB2_84 Depth=1
	s_add_u32 s8, s36, 0x1000
	s_addc_u32 s9, s37, 0
	s_mov_b64 s[4:5], s[38:39]
	s_mov_b64 s[10:11], s[34:35]
	s_mov_b32 s12, s45
	s_mov_b32 s13, s44
	;; [unrolled: 1-line block ×3, first 2 shown]
	v_mov_b32_e32 v31, v40
	s_getpc_b64 s[0:1]
	s_add_u32 s0, s0, _Z54ncclDevFunc_AllReduce_RING_SIMPLE_PreMulSum_bf16_1_1_4v@rel32@lo+4
	s_addc_u32 s1, s1, _Z54ncclDevFunc_AllReduce_RING_SIMPLE_PreMulSum_bf16_1_1_4v@rel32@hi+12
	s_swappc_b64 s[30:31], s[0:1]
	s_mov_b64 s[0:1], 0
.LBB2_148:                              ;   in Loop: Header=BB2_84 Depth=1
	s_andn2_b64 vcc, exec, s[0:1]
	s_cbranch_vccnz .LBB2_150
; %bb.149:                              ;   in Loop: Header=BB2_84 Depth=1
	s_add_u32 s8, s36, 0x1000
	s_addc_u32 s9, s37, 0
	s_mov_b64 s[4:5], s[38:39]
	s_mov_b64 s[10:11], s[34:35]
	s_mov_b32 s12, s45
	s_mov_b32 s13, s44
	;; [unrolled: 1-line block ×3, first 2 shown]
	v_mov_b32_e32 v31, v40
	s_getpc_b64 s[0:1]
	s_add_u32 s0, s0, _Z54ncclDevFunc_AllReduce_RING_SIMPLE_PreMulSum_bf16_1_0_4v@rel32@lo+4
	s_addc_u32 s1, s1, _Z54ncclDevFunc_AllReduce_RING_SIMPLE_PreMulSum_bf16_1_0_4v@rel32@hi+12
	s_swappc_b64 s[30:31], s[0:1]
.LBB2_150:                              ;   in Loop: Header=BB2_84 Depth=1
	s_mov_b64 s[0:1], 0
.LBB2_151:                              ;   in Loop: Header=BB2_84 Depth=1
	s_andn2_b64 vcc, exec, s[0:1]
	s_cbranch_vccnz .LBB2_153
; %bb.152:                              ;   in Loop: Header=BB2_84 Depth=1
	s_add_u32 s8, s36, 0x1000
	s_addc_u32 s9, s37, 0
	s_mov_b64 s[4:5], s[38:39]
	s_mov_b64 s[10:11], s[34:35]
	s_mov_b32 s12, s45
	s_mov_b32 s13, s44
	;; [unrolled: 1-line block ×3, first 2 shown]
	v_mov_b32_e32 v31, v40
	s_getpc_b64 s[0:1]
	s_add_u32 s0, s0, _Z54ncclDevFunc_AllReduce_RING_SIMPLE_PreMulSum_bf16_0_1_4v@rel32@lo+4
	s_addc_u32 s1, s1, _Z54ncclDevFunc_AllReduce_RING_SIMPLE_PreMulSum_bf16_0_1_4v@rel32@hi+12
	s_swappc_b64 s[30:31], s[0:1]
.LBB2_153:                              ;   in Loop: Header=BB2_84 Depth=1
	s_mov_b64 s[0:1], 0
.LBB2_154:                              ;   in Loop: Header=BB2_84 Depth=1
	s_and_b64 vcc, exec, s[0:1]
	s_cbranch_vccz .LBB2_163
; %bb.155:                              ;   in Loop: Header=BB2_84 Depth=1
	v_mov_b32_e32 v0, 0xa2
	v_cmp_lt_i16_sdwa s[2:3], s55, v0 src0_sel:BYTE_0 src1_sel:DWORD
	s_mov_b64 s[0:1], -1
	s_and_b64 vcc, exec, s[2:3]
	s_cbranch_vccnz .LBB2_161
; %bb.156:                              ;   in Loop: Header=BB2_84 Depth=1
	v_cmp_ne_u16_sdwa s[2:3], s55, v0 src0_sel:BYTE_0 src1_sel:DWORD
	s_and_b64 vcc, exec, s[2:3]
	s_cbranch_vccz .LBB2_158
; %bb.157:                              ;   in Loop: Header=BB2_84 Depth=1
	s_add_u32 s8, s36, 0x1000
	s_addc_u32 s9, s37, 0
	s_mov_b64 s[4:5], s[38:39]
	s_mov_b64 s[10:11], s[34:35]
	s_mov_b32 s12, s45
	s_mov_b32 s13, s44
	;; [unrolled: 1-line block ×3, first 2 shown]
	v_mov_b32_e32 v31, v40
	s_getpc_b64 s[0:1]
	s_add_u32 s0, s0, _Z54ncclDevFunc_AllReduce_RING_SIMPLE_PreMulSum_bf16_0_0_4v@rel32@lo+4
	s_addc_u32 s1, s1, _Z54ncclDevFunc_AllReduce_RING_SIMPLE_PreMulSum_bf16_0_0_4v@rel32@hi+12
	s_swappc_b64 s[30:31], s[0:1]
	s_mov_b64 s[0:1], 0
.LBB2_158:                              ;   in Loop: Header=BB2_84 Depth=1
	s_andn2_b64 vcc, exec, s[0:1]
	s_cbranch_vccnz .LBB2_160
; %bb.159:                              ;   in Loop: Header=BB2_84 Depth=1
	s_add_u32 s8, s36, 0x1000
	s_addc_u32 s9, s37, 0
	s_mov_b64 s[4:5], s[38:39]
	s_mov_b64 s[10:11], s[34:35]
	s_mov_b32 s12, s45
	s_mov_b32 s13, s44
	;; [unrolled: 1-line block ×3, first 2 shown]
	v_mov_b32_e32 v31, v40
	s_getpc_b64 s[0:1]
	s_add_u32 s0, s0, _Z53ncclDevFunc_AllReduce_RING_SIMPLE_PreMulSum_f64_1_0_4v@rel32@lo+4
	s_addc_u32 s1, s1, _Z53ncclDevFunc_AllReduce_RING_SIMPLE_PreMulSum_f64_1_0_4v@rel32@hi+12
	s_swappc_b64 s[30:31], s[0:1]
.LBB2_160:                              ;   in Loop: Header=BB2_84 Depth=1
	s_mov_b64 s[0:1], 0
.LBB2_161:                              ;   in Loop: Header=BB2_84 Depth=1
	s_andn2_b64 vcc, exec, s[0:1]
	s_cbranch_vccnz .LBB2_163
; %bb.162:                              ;   in Loop: Header=BB2_84 Depth=1
	s_add_u32 s8, s36, 0x1000
	s_addc_u32 s9, s37, 0
	s_mov_b64 s[4:5], s[38:39]
	s_mov_b64 s[10:11], s[34:35]
	s_mov_b32 s12, s45
	s_mov_b32 s13, s44
	s_mov_b32 s14, s33
	v_mov_b32_e32 v31, v40
	s_getpc_b64 s[0:1]
	s_add_u32 s0, s0, _Z53ncclDevFunc_AllReduce_RING_SIMPLE_PreMulSum_f64_0_0_4v@rel32@lo+4
	s_addc_u32 s1, s1, _Z53ncclDevFunc_AllReduce_RING_SIMPLE_PreMulSum_f64_0_0_4v@rel32@hi+12
	s_swappc_b64 s[30:31], s[0:1]
.LBB2_163:                              ;   in Loop: Header=BB2_84 Depth=1
	s_mov_b64 s[0:1], 0
.LBB2_164:                              ;   in Loop: Header=BB2_84 Depth=1
	s_andn2_b64 vcc, exec, s[0:1]
	s_cbranch_vccnz .LBB2_180
; %bb.165:                              ;   in Loop: Header=BB2_84 Depth=1
	s_cmpk_gt_u32 s55, 0x9d
	s_mov_b64 s[0:1], -1
	s_cbranch_scc0 .LBB2_175
; %bb.166:                              ;   in Loop: Header=BB2_84 Depth=1
	v_mov_b32_e32 v0, 0x9f
	v_cmp_lt_i16_sdwa s[2:3], s55, v0 src0_sel:BYTE_0 src1_sel:DWORD
	s_and_b64 vcc, exec, s[2:3]
	s_cbranch_vccnz .LBB2_172
; %bb.167:                              ;   in Loop: Header=BB2_84 Depth=1
	v_cmp_ne_u16_sdwa s[2:3], s55, v0 src0_sel:BYTE_0 src1_sel:DWORD
	s_and_b64 vcc, exec, s[2:3]
	s_cbranch_vccz .LBB2_169
; %bb.168:                              ;   in Loop: Header=BB2_84 Depth=1
	s_add_u32 s8, s36, 0x1000
	s_addc_u32 s9, s37, 0
	s_mov_b64 s[4:5], s[38:39]
	s_mov_b64 s[10:11], s[34:35]
	s_mov_b32 s12, s45
	s_mov_b32 s13, s44
	s_mov_b32 s14, s33
	v_mov_b32_e32 v31, v40
	s_getpc_b64 s[0:1]
	s_add_u32 s0, s0, _Z53ncclDevFunc_AllReduce_RING_SIMPLE_PreMulSum_f32_1_0_4v@rel32@lo+4
	s_addc_u32 s1, s1, _Z53ncclDevFunc_AllReduce_RING_SIMPLE_PreMulSum_f32_1_0_4v@rel32@hi+12
	s_swappc_b64 s[30:31], s[0:1]
	s_mov_b64 s[0:1], 0
.LBB2_169:                              ;   in Loop: Header=BB2_84 Depth=1
	s_andn2_b64 vcc, exec, s[0:1]
	s_cbranch_vccnz .LBB2_171
; %bb.170:                              ;   in Loop: Header=BB2_84 Depth=1
	s_add_u32 s8, s36, 0x1000
	s_addc_u32 s9, s37, 0
	s_mov_b64 s[4:5], s[38:39]
	s_mov_b64 s[10:11], s[34:35]
	s_mov_b32 s12, s45
	s_mov_b32 s13, s44
	;; [unrolled: 1-line block ×3, first 2 shown]
	v_mov_b32_e32 v31, v40
	s_getpc_b64 s[0:1]
	s_add_u32 s0, s0, _Z53ncclDevFunc_AllReduce_RING_SIMPLE_PreMulSum_f32_0_0_4v@rel32@lo+4
	s_addc_u32 s1, s1, _Z53ncclDevFunc_AllReduce_RING_SIMPLE_PreMulSum_f32_0_0_4v@rel32@hi+12
	s_swappc_b64 s[30:31], s[0:1]
.LBB2_171:                              ;   in Loop: Header=BB2_84 Depth=1
	s_mov_b64 s[0:1], 0
.LBB2_172:                              ;   in Loop: Header=BB2_84 Depth=1
	s_andn2_b64 vcc, exec, s[0:1]
	s_cbranch_vccnz .LBB2_174
; %bb.173:                              ;   in Loop: Header=BB2_84 Depth=1
	s_add_u32 s8, s36, 0x1000
	s_addc_u32 s9, s37, 0
	s_mov_b64 s[4:5], s[38:39]
	s_mov_b64 s[10:11], s[34:35]
	s_mov_b32 s12, s45
	s_mov_b32 s13, s44
	;; [unrolled: 1-line block ×3, first 2 shown]
	v_mov_b32_e32 v31, v40
	s_getpc_b64 s[0:1]
	s_add_u32 s0, s0, _Z53ncclDevFunc_AllReduce_RING_SIMPLE_PreMulSum_f16_1_0_4v@rel32@lo+4
	s_addc_u32 s1, s1, _Z53ncclDevFunc_AllReduce_RING_SIMPLE_PreMulSum_f16_1_0_4v@rel32@hi+12
	s_swappc_b64 s[30:31], s[0:1]
.LBB2_174:                              ;   in Loop: Header=BB2_84 Depth=1
	s_mov_b64 s[0:1], 0
.LBB2_175:                              ;   in Loop: Header=BB2_84 Depth=1
	s_and_b64 vcc, exec, s[0:1]
	s_cbranch_vccz .LBB2_180
; %bb.176:                              ;   in Loop: Header=BB2_84 Depth=1
	s_cmpk_eq_i32 s55, 0x9d
	s_mov_b64 s[0:1], -1
	s_cbranch_scc1 .LBB2_178
; %bb.177:                              ;   in Loop: Header=BB2_84 Depth=1
	s_add_u32 s8, s36, 0x1000
	s_addc_u32 s9, s37, 0
	s_mov_b64 s[4:5], s[38:39]
	s_mov_b64 s[10:11], s[34:35]
	s_mov_b32 s12, s45
	s_mov_b32 s13, s44
	;; [unrolled: 1-line block ×3, first 2 shown]
	v_mov_b32_e32 v31, v40
	s_getpc_b64 s[0:1]
	s_add_u32 s0, s0, _Z53ncclDevFunc_AllReduce_RING_SIMPLE_PreMulSum_u64_1_0_4v@rel32@lo+4
	s_addc_u32 s1, s1, _Z53ncclDevFunc_AllReduce_RING_SIMPLE_PreMulSum_u64_1_0_4v@rel32@hi+12
	s_swappc_b64 s[30:31], s[0:1]
	s_mov_b64 s[0:1], 0
.LBB2_178:                              ;   in Loop: Header=BB2_84 Depth=1
	s_andn2_b64 vcc, exec, s[0:1]
	s_cbranch_vccnz .LBB2_180
; %bb.179:                              ;   in Loop: Header=BB2_84 Depth=1
	s_add_u32 s8, s36, 0x1000
	s_addc_u32 s9, s37, 0
	s_mov_b64 s[4:5], s[38:39]
	s_mov_b64 s[10:11], s[34:35]
	s_mov_b32 s12, s45
	s_mov_b32 s13, s44
	;; [unrolled: 1-line block ×3, first 2 shown]
	v_mov_b32_e32 v31, v40
	s_getpc_b64 s[0:1]
	s_add_u32 s0, s0, _Z53ncclDevFunc_AllReduce_RING_SIMPLE_PreMulSum_f16_0_0_4v@rel32@lo+4
	s_addc_u32 s1, s1, _Z53ncclDevFunc_AllReduce_RING_SIMPLE_PreMulSum_f16_0_0_4v@rel32@hi+12
	s_swappc_b64 s[30:31], s[0:1]
.LBB2_180:                              ;   in Loop: Header=BB2_84 Depth=1
	s_mov_b64 s[0:1], 0
.LBB2_181:                              ;   in Loop: Header=BB2_84 Depth=1
	s_andn2_b64 vcc, exec, s[0:1]
	s_cbranch_vccnz .LBB2_259
; %bb.182:                              ;   in Loop: Header=BB2_84 Depth=1
	s_cmpk_gt_u32 s55, 0x90
	s_mov_b64 s[0:1], -1
	s_cbranch_scc0 .LBB2_221
; %bb.183:                              ;   in Loop: Header=BB2_84 Depth=1
	s_cmpk_gt_u32 s55, 0x95
	s_cbranch_scc0 .LBB2_204
; %bb.184:                              ;   in Loop: Header=BB2_84 Depth=1
	s_cmpk_gt_u32 s55, 0x98
	s_cbranch_scc0 .LBB2_194
; %bb.185:                              ;   in Loop: Header=BB2_84 Depth=1
	v_mov_b32_e32 v0, 0x9a
	v_cmp_lt_i16_sdwa s[2:3], s55, v0 src0_sel:BYTE_0 src1_sel:DWORD
	s_and_b64 vcc, exec, s[2:3]
	s_cbranch_vccnz .LBB2_191
; %bb.186:                              ;   in Loop: Header=BB2_84 Depth=1
	v_cmp_ne_u16_sdwa s[2:3], s55, v0 src0_sel:BYTE_0 src1_sel:DWORD
	s_and_b64 vcc, exec, s[2:3]
	s_cbranch_vccz .LBB2_188
; %bb.187:                              ;   in Loop: Header=BB2_84 Depth=1
	s_add_u32 s8, s36, 0x1000
	s_addc_u32 s9, s37, 0
	s_mov_b64 s[4:5], s[38:39]
	s_mov_b64 s[10:11], s[34:35]
	s_mov_b32 s12, s45
	s_mov_b32 s13, s44
	;; [unrolled: 1-line block ×3, first 2 shown]
	v_mov_b32_e32 v31, v40
	s_getpc_b64 s[0:1]
	s_add_u32 s0, s0, _Z53ncclDevFunc_AllReduce_RING_SIMPLE_PreMulSum_u64_0_0_4v@rel32@lo+4
	s_addc_u32 s1, s1, _Z53ncclDevFunc_AllReduce_RING_SIMPLE_PreMulSum_u64_0_0_4v@rel32@hi+12
	s_swappc_b64 s[30:31], s[0:1]
	s_mov_b64 s[0:1], 0
.LBB2_188:                              ;   in Loop: Header=BB2_84 Depth=1
	s_andn2_b64 vcc, exec, s[0:1]
	s_cbranch_vccnz .LBB2_190
; %bb.189:                              ;   in Loop: Header=BB2_84 Depth=1
	s_add_u32 s8, s36, 0x1000
	s_addc_u32 s9, s37, 0
	s_mov_b64 s[4:5], s[38:39]
	s_mov_b64 s[10:11], s[34:35]
	s_mov_b32 s12, s45
	s_mov_b32 s13, s44
	;; [unrolled: 1-line block ×3, first 2 shown]
	v_mov_b32_e32 v31, v40
	s_getpc_b64 s[0:1]
	s_add_u32 s0, s0, _Z53ncclDevFunc_AllReduce_RING_SIMPLE_PreMulSum_u32_1_0_4v@rel32@lo+4
	s_addc_u32 s1, s1, _Z53ncclDevFunc_AllReduce_RING_SIMPLE_PreMulSum_u32_1_0_4v@rel32@hi+12
	s_swappc_b64 s[30:31], s[0:1]
.LBB2_190:                              ;   in Loop: Header=BB2_84 Depth=1
	s_mov_b64 s[0:1], 0
.LBB2_191:                              ;   in Loop: Header=BB2_84 Depth=1
	s_andn2_b64 vcc, exec, s[0:1]
	s_cbranch_vccnz .LBB2_193
; %bb.192:                              ;   in Loop: Header=BB2_84 Depth=1
	s_add_u32 s8, s36, 0x1000
	s_addc_u32 s9, s37, 0
	s_mov_b64 s[4:5], s[38:39]
	s_mov_b64 s[10:11], s[34:35]
	s_mov_b32 s12, s45
	s_mov_b32 s13, s44
	;; [unrolled: 1-line block ×3, first 2 shown]
	v_mov_b32_e32 v31, v40
	s_getpc_b64 s[0:1]
	s_add_u32 s0, s0, _Z53ncclDevFunc_AllReduce_RING_SIMPLE_PreMulSum_u32_0_0_4v@rel32@lo+4
	s_addc_u32 s1, s1, _Z53ncclDevFunc_AllReduce_RING_SIMPLE_PreMulSum_u32_0_0_4v@rel32@hi+12
	s_swappc_b64 s[30:31], s[0:1]
.LBB2_193:                              ;   in Loop: Header=BB2_84 Depth=1
	s_mov_b64 s[0:1], 0
.LBB2_194:                              ;   in Loop: Header=BB2_84 Depth=1
	s_and_b64 vcc, exec, s[0:1]
	s_cbranch_vccz .LBB2_203
; %bb.195:                              ;   in Loop: Header=BB2_84 Depth=1
	v_mov_b32_e32 v0, 0x97
	v_cmp_lt_i16_sdwa s[2:3], s55, v0 src0_sel:BYTE_0 src1_sel:DWORD
	s_mov_b64 s[0:1], -1
	s_and_b64 vcc, exec, s[2:3]
	s_cbranch_vccnz .LBB2_201
; %bb.196:                              ;   in Loop: Header=BB2_84 Depth=1
	v_cmp_ne_u16_sdwa s[2:3], s55, v0 src0_sel:BYTE_0 src1_sel:DWORD
	s_and_b64 vcc, exec, s[2:3]
	s_cbranch_vccz .LBB2_198
; %bb.197:                              ;   in Loop: Header=BB2_84 Depth=1
	s_add_u32 s8, s36, 0x1000
	s_addc_u32 s9, s37, 0
	s_mov_b64 s[4:5], s[38:39]
	s_mov_b64 s[10:11], s[34:35]
	s_mov_b32 s12, s45
	s_mov_b32 s13, s44
	;; [unrolled: 1-line block ×3, first 2 shown]
	v_mov_b32_e32 v31, v40
	s_getpc_b64 s[0:1]
	s_add_u32 s0, s0, _Z52ncclDevFunc_AllReduce_RING_SIMPLE_PreMulSum_u8_1_0_4v@rel32@lo+4
	s_addc_u32 s1, s1, _Z52ncclDevFunc_AllReduce_RING_SIMPLE_PreMulSum_u8_1_0_4v@rel32@hi+12
	s_swappc_b64 s[30:31], s[0:1]
	s_mov_b64 s[0:1], 0
.LBB2_198:                              ;   in Loop: Header=BB2_84 Depth=1
	s_andn2_b64 vcc, exec, s[0:1]
	s_cbranch_vccnz .LBB2_200
; %bb.199:                              ;   in Loop: Header=BB2_84 Depth=1
	s_add_u32 s8, s36, 0x1000
	s_addc_u32 s9, s37, 0
	s_mov_b64 s[4:5], s[38:39]
	s_mov_b64 s[10:11], s[34:35]
	s_mov_b32 s12, s45
	s_mov_b32 s13, s44
	;; [unrolled: 1-line block ×3, first 2 shown]
	v_mov_b32_e32 v31, v40
	s_getpc_b64 s[0:1]
	s_add_u32 s0, s0, _Z52ncclDevFunc_AllReduce_RING_SIMPLE_PreMulSum_u8_0_0_4v@rel32@lo+4
	s_addc_u32 s1, s1, _Z52ncclDevFunc_AllReduce_RING_SIMPLE_PreMulSum_u8_0_0_4v@rel32@hi+12
	s_swappc_b64 s[30:31], s[0:1]
.LBB2_200:                              ;   in Loop: Header=BB2_84 Depth=1
	s_mov_b64 s[0:1], 0
.LBB2_201:                              ;   in Loop: Header=BB2_84 Depth=1
	s_andn2_b64 vcc, exec, s[0:1]
	s_cbranch_vccnz .LBB2_203
; %bb.202:                              ;   in Loop: Header=BB2_84 Depth=1
	s_add_u32 s8, s36, 0x1000
	s_addc_u32 s9, s37, 0
	s_mov_b64 s[4:5], s[38:39]
	s_mov_b64 s[10:11], s[34:35]
	s_mov_b32 s12, s45
	s_mov_b32 s13, s44
	;; [unrolled: 1-line block ×3, first 2 shown]
	v_mov_b32_e32 v31, v40
	s_getpc_b64 s[0:1]
	s_add_u32 s0, s0, _Z53ncclDevFunc_AllReduce_RING_SIMPLE_MinMax_f8e5m2_1_0_4v@rel32@lo+4
	s_addc_u32 s1, s1, _Z53ncclDevFunc_AllReduce_RING_SIMPLE_MinMax_f8e5m2_1_0_4v@rel32@hi+12
	s_swappc_b64 s[30:31], s[0:1]
.LBB2_203:                              ;   in Loop: Header=BB2_84 Depth=1
	s_mov_b64 s[0:1], 0
.LBB2_204:                              ;   in Loop: Header=BB2_84 Depth=1
	s_andn2_b64 vcc, exec, s[0:1]
	s_cbranch_vccnz .LBB2_220
; %bb.205:                              ;   in Loop: Header=BB2_84 Depth=1
	s_cmpk_gt_u32 s55, 0x92
	s_mov_b64 s[0:1], -1
	s_cbranch_scc0 .LBB2_215
; %bb.206:                              ;   in Loop: Header=BB2_84 Depth=1
	v_mov_b32_e32 v0, 0x94
	v_cmp_lt_i16_sdwa s[2:3], s55, v0 src0_sel:BYTE_0 src1_sel:DWORD
	s_and_b64 vcc, exec, s[2:3]
	s_cbranch_vccnz .LBB2_212
; %bb.207:                              ;   in Loop: Header=BB2_84 Depth=1
	v_cmp_ne_u16_sdwa s[2:3], s55, v0 src0_sel:BYTE_0 src1_sel:DWORD
	s_and_b64 vcc, exec, s[2:3]
	s_cbranch_vccz .LBB2_209
; %bb.208:                              ;   in Loop: Header=BB2_84 Depth=1
	s_add_u32 s8, s36, 0x1000
	s_addc_u32 s9, s37, 0
	s_mov_b64 s[4:5], s[38:39]
	s_mov_b64 s[10:11], s[34:35]
	s_mov_b32 s12, s45
	s_mov_b32 s13, s44
	;; [unrolled: 1-line block ×3, first 2 shown]
	v_mov_b32_e32 v31, v40
	s_getpc_b64 s[0:1]
	s_add_u32 s0, s0, _Z53ncclDevFunc_AllReduce_RING_SIMPLE_MinMax_f8e5m2_0_0_4v@rel32@lo+4
	s_addc_u32 s1, s1, _Z53ncclDevFunc_AllReduce_RING_SIMPLE_MinMax_f8e5m2_0_0_4v@rel32@hi+12
	s_swappc_b64 s[30:31], s[0:1]
	s_mov_b64 s[0:1], 0
.LBB2_209:                              ;   in Loop: Header=BB2_84 Depth=1
	s_andn2_b64 vcc, exec, s[0:1]
	s_cbranch_vccnz .LBB2_211
; %bb.210:                              ;   in Loop: Header=BB2_84 Depth=1
	s_add_u32 s8, s36, 0x1000
	s_addc_u32 s9, s37, 0
	s_mov_b64 s[4:5], s[38:39]
	s_mov_b64 s[10:11], s[34:35]
	s_mov_b32 s12, s45
	s_mov_b32 s13, s44
	;; [unrolled: 1-line block ×3, first 2 shown]
	v_mov_b32_e32 v31, v40
	s_getpc_b64 s[0:1]
	s_add_u32 s0, s0, _Z53ncclDevFunc_AllReduce_RING_SIMPLE_MinMax_f8e4m3_1_0_4v@rel32@lo+4
	s_addc_u32 s1, s1, _Z53ncclDevFunc_AllReduce_RING_SIMPLE_MinMax_f8e4m3_1_0_4v@rel32@hi+12
	s_swappc_b64 s[30:31], s[0:1]
.LBB2_211:                              ;   in Loop: Header=BB2_84 Depth=1
	s_mov_b64 s[0:1], 0
.LBB2_212:                              ;   in Loop: Header=BB2_84 Depth=1
	s_andn2_b64 vcc, exec, s[0:1]
	s_cbranch_vccnz .LBB2_214
; %bb.213:                              ;   in Loop: Header=BB2_84 Depth=1
	s_add_u32 s8, s36, 0x1000
	s_addc_u32 s9, s37, 0
	s_mov_b64 s[4:5], s[38:39]
	s_mov_b64 s[10:11], s[34:35]
	s_mov_b32 s12, s45
	s_mov_b32 s13, s44
	s_mov_b32 s14, s33
	v_mov_b32_e32 v31, v40
	s_getpc_b64 s[0:1]
	s_add_u32 s0, s0, _Z53ncclDevFunc_AllReduce_RING_SIMPLE_MinMax_f8e4m3_0_0_4v@rel32@lo+4
	s_addc_u32 s1, s1, _Z53ncclDevFunc_AllReduce_RING_SIMPLE_MinMax_f8e4m3_0_0_4v@rel32@hi+12
	s_swappc_b64 s[30:31], s[0:1]
.LBB2_214:                              ;   in Loop: Header=BB2_84 Depth=1
	s_mov_b64 s[0:1], 0
.LBB2_215:                              ;   in Loop: Header=BB2_84 Depth=1
	s_and_b64 vcc, exec, s[0:1]
	s_cbranch_vccz .LBB2_220
; %bb.216:                              ;   in Loop: Header=BB2_84 Depth=1
	s_cmpk_eq_i32 s55, 0x92
	s_mov_b64 s[0:1], -1
	s_cbranch_scc1 .LBB2_218
; %bb.217:                              ;   in Loop: Header=BB2_84 Depth=1
	s_add_u32 s8, s36, 0x1000
	s_addc_u32 s9, s37, 0
	s_mov_b64 s[4:5], s[38:39]
	s_mov_b64 s[10:11], s[34:35]
	s_mov_b32 s12, s45
	s_mov_b32 s13, s44
	;; [unrolled: 1-line block ×3, first 2 shown]
	v_mov_b32_e32 v31, v40
	s_getpc_b64 s[0:1]
	s_add_u32 s0, s0, _Z51ncclDevFunc_AllReduce_RING_SIMPLE_MinMax_bf16_1_0_4v@rel32@lo+4
	s_addc_u32 s1, s1, _Z51ncclDevFunc_AllReduce_RING_SIMPLE_MinMax_bf16_1_0_4v@rel32@hi+12
	s_swappc_b64 s[30:31], s[0:1]
	s_mov_b64 s[0:1], 0
.LBB2_218:                              ;   in Loop: Header=BB2_84 Depth=1
	s_andn2_b64 vcc, exec, s[0:1]
	s_cbranch_vccnz .LBB2_220
; %bb.219:                              ;   in Loop: Header=BB2_84 Depth=1
	s_add_u32 s8, s36, 0x1000
	s_addc_u32 s9, s37, 0
	s_mov_b64 s[4:5], s[38:39]
	s_mov_b64 s[10:11], s[34:35]
	s_mov_b32 s12, s45
	s_mov_b32 s13, s44
	;; [unrolled: 1-line block ×3, first 2 shown]
	v_mov_b32_e32 v31, v40
	s_getpc_b64 s[0:1]
	s_add_u32 s0, s0, _Z51ncclDevFunc_AllReduce_RING_SIMPLE_MinMax_bf16_1_1_4v@rel32@lo+4
	s_addc_u32 s1, s1, _Z51ncclDevFunc_AllReduce_RING_SIMPLE_MinMax_bf16_1_1_4v@rel32@hi+12
	s_swappc_b64 s[30:31], s[0:1]
.LBB2_220:                              ;   in Loop: Header=BB2_84 Depth=1
	s_mov_b64 s[0:1], 0
.LBB2_221:                              ;   in Loop: Header=BB2_84 Depth=1
	s_andn2_b64 vcc, exec, s[0:1]
	s_cbranch_vccnz .LBB2_259
; %bb.222:                              ;   in Loop: Header=BB2_84 Depth=1
	s_cmpk_gt_u32 s55, 0x8a
	s_mov_b64 s[0:1], -1
	s_cbranch_scc0 .LBB2_243
; %bb.223:                              ;   in Loop: Header=BB2_84 Depth=1
	s_cmpk_gt_u32 s55, 0x8d
	s_cbranch_scc0 .LBB2_233
; %bb.224:                              ;   in Loop: Header=BB2_84 Depth=1
	v_mov_b32_e32 v0, 0x8f
	v_cmp_lt_i16_sdwa s[2:3], s55, v0 src0_sel:BYTE_0 src1_sel:DWORD
	s_and_b64 vcc, exec, s[2:3]
	s_cbranch_vccnz .LBB2_230
; %bb.225:                              ;   in Loop: Header=BB2_84 Depth=1
	v_cmp_ne_u16_sdwa s[2:3], s55, v0 src0_sel:BYTE_0 src1_sel:DWORD
	s_and_b64 vcc, exec, s[2:3]
	s_cbranch_vccz .LBB2_227
; %bb.226:                              ;   in Loop: Header=BB2_84 Depth=1
	s_add_u32 s8, s36, 0x1000
	s_addc_u32 s9, s37, 0
	s_mov_b64 s[4:5], s[38:39]
	s_mov_b64 s[10:11], s[34:35]
	s_mov_b32 s12, s45
	s_mov_b32 s13, s44
	;; [unrolled: 1-line block ×3, first 2 shown]
	v_mov_b32_e32 v31, v40
	s_getpc_b64 s[0:1]
	s_add_u32 s0, s0, _Z51ncclDevFunc_AllReduce_RING_SIMPLE_MinMax_bf16_0_1_4v@rel32@lo+4
	s_addc_u32 s1, s1, _Z51ncclDevFunc_AllReduce_RING_SIMPLE_MinMax_bf16_0_1_4v@rel32@hi+12
	s_swappc_b64 s[30:31], s[0:1]
	s_mov_b64 s[0:1], 0
.LBB2_227:                              ;   in Loop: Header=BB2_84 Depth=1
	s_andn2_b64 vcc, exec, s[0:1]
	s_cbranch_vccnz .LBB2_229
; %bb.228:                              ;   in Loop: Header=BB2_84 Depth=1
	s_add_u32 s8, s36, 0x1000
	s_addc_u32 s9, s37, 0
	s_mov_b64 s[4:5], s[38:39]
	s_mov_b64 s[10:11], s[34:35]
	s_mov_b32 s12, s45
	s_mov_b32 s13, s44
	;; [unrolled: 1-line block ×3, first 2 shown]
	v_mov_b32_e32 v31, v40
	s_getpc_b64 s[0:1]
	s_add_u32 s0, s0, _Z51ncclDevFunc_AllReduce_RING_SIMPLE_MinMax_bf16_0_0_4v@rel32@lo+4
	s_addc_u32 s1, s1, _Z51ncclDevFunc_AllReduce_RING_SIMPLE_MinMax_bf16_0_0_4v@rel32@hi+12
	s_swappc_b64 s[30:31], s[0:1]
.LBB2_229:                              ;   in Loop: Header=BB2_84 Depth=1
	s_mov_b64 s[0:1], 0
.LBB2_230:                              ;   in Loop: Header=BB2_84 Depth=1
	s_andn2_b64 vcc, exec, s[0:1]
	s_cbranch_vccnz .LBB2_232
; %bb.231:                              ;   in Loop: Header=BB2_84 Depth=1
	s_add_u32 s8, s36, 0x1000
	s_addc_u32 s9, s37, 0
	s_mov_b64 s[4:5], s[38:39]
	s_mov_b64 s[10:11], s[34:35]
	s_mov_b32 s12, s45
	s_mov_b32 s13, s44
	;; [unrolled: 1-line block ×3, first 2 shown]
	v_mov_b32_e32 v31, v40
	s_getpc_b64 s[0:1]
	s_add_u32 s0, s0, _Z50ncclDevFunc_AllReduce_RING_SIMPLE_MinMax_f64_1_0_4v@rel32@lo+4
	s_addc_u32 s1, s1, _Z50ncclDevFunc_AllReduce_RING_SIMPLE_MinMax_f64_1_0_4v@rel32@hi+12
	s_swappc_b64 s[30:31], s[0:1]
.LBB2_232:                              ;   in Loop: Header=BB2_84 Depth=1
	s_mov_b64 s[0:1], 0
.LBB2_233:                              ;   in Loop: Header=BB2_84 Depth=1
	s_and_b64 vcc, exec, s[0:1]
	s_cbranch_vccz .LBB2_242
; %bb.234:                              ;   in Loop: Header=BB2_84 Depth=1
	v_mov_b32_e32 v0, 0x8c
	v_cmp_lt_i16_sdwa s[2:3], s55, v0 src0_sel:BYTE_0 src1_sel:DWORD
	s_mov_b64 s[0:1], -1
	s_and_b64 vcc, exec, s[2:3]
	s_cbranch_vccnz .LBB2_240
; %bb.235:                              ;   in Loop: Header=BB2_84 Depth=1
	v_cmp_ne_u16_sdwa s[2:3], s55, v0 src0_sel:BYTE_0 src1_sel:DWORD
	s_and_b64 vcc, exec, s[2:3]
	s_cbranch_vccz .LBB2_237
; %bb.236:                              ;   in Loop: Header=BB2_84 Depth=1
	s_add_u32 s8, s36, 0x1000
	s_addc_u32 s9, s37, 0
	s_mov_b64 s[4:5], s[38:39]
	s_mov_b64 s[10:11], s[34:35]
	s_mov_b32 s12, s45
	s_mov_b32 s13, s44
	;; [unrolled: 1-line block ×3, first 2 shown]
	v_mov_b32_e32 v31, v40
	s_getpc_b64 s[0:1]
	s_add_u32 s0, s0, _Z50ncclDevFunc_AllReduce_RING_SIMPLE_MinMax_f64_0_0_4v@rel32@lo+4
	s_addc_u32 s1, s1, _Z50ncclDevFunc_AllReduce_RING_SIMPLE_MinMax_f64_0_0_4v@rel32@hi+12
	s_swappc_b64 s[30:31], s[0:1]
	s_mov_b64 s[0:1], 0
.LBB2_237:                              ;   in Loop: Header=BB2_84 Depth=1
	s_andn2_b64 vcc, exec, s[0:1]
	s_cbranch_vccnz .LBB2_239
; %bb.238:                              ;   in Loop: Header=BB2_84 Depth=1
	s_add_u32 s8, s36, 0x1000
	s_addc_u32 s9, s37, 0
	s_mov_b64 s[4:5], s[38:39]
	s_mov_b64 s[10:11], s[34:35]
	s_mov_b32 s12, s45
	s_mov_b32 s13, s44
	;; [unrolled: 1-line block ×3, first 2 shown]
	v_mov_b32_e32 v31, v40
	s_getpc_b64 s[0:1]
	s_add_u32 s0, s0, _Z50ncclDevFunc_AllReduce_RING_SIMPLE_MinMax_f32_1_0_4v@rel32@lo+4
	s_addc_u32 s1, s1, _Z50ncclDevFunc_AllReduce_RING_SIMPLE_MinMax_f32_1_0_4v@rel32@hi+12
	s_swappc_b64 s[30:31], s[0:1]
.LBB2_239:                              ;   in Loop: Header=BB2_84 Depth=1
	s_mov_b64 s[0:1], 0
.LBB2_240:                              ;   in Loop: Header=BB2_84 Depth=1
	s_andn2_b64 vcc, exec, s[0:1]
	s_cbranch_vccnz .LBB2_242
; %bb.241:                              ;   in Loop: Header=BB2_84 Depth=1
	s_add_u32 s8, s36, 0x1000
	s_addc_u32 s9, s37, 0
	s_mov_b64 s[4:5], s[38:39]
	s_mov_b64 s[10:11], s[34:35]
	s_mov_b32 s12, s45
	s_mov_b32 s13, s44
	;; [unrolled: 1-line block ×3, first 2 shown]
	v_mov_b32_e32 v31, v40
	s_getpc_b64 s[0:1]
	s_add_u32 s0, s0, _Z50ncclDevFunc_AllReduce_RING_SIMPLE_MinMax_f32_0_0_4v@rel32@lo+4
	s_addc_u32 s1, s1, _Z50ncclDevFunc_AllReduce_RING_SIMPLE_MinMax_f32_0_0_4v@rel32@hi+12
	s_swappc_b64 s[30:31], s[0:1]
.LBB2_242:                              ;   in Loop: Header=BB2_84 Depth=1
	s_mov_b64 s[0:1], 0
.LBB2_243:                              ;   in Loop: Header=BB2_84 Depth=1
	s_andn2_b64 vcc, exec, s[0:1]
	s_cbranch_vccnz .LBB2_259
; %bb.244:                              ;   in Loop: Header=BB2_84 Depth=1
	s_cmpk_gt_u32 s55, 0x87
	s_mov_b64 s[0:1], -1
	s_cbranch_scc0 .LBB2_254
; %bb.245:                              ;   in Loop: Header=BB2_84 Depth=1
	v_mov_b32_e32 v0, 0x89
	v_cmp_lt_i16_sdwa s[2:3], s55, v0 src0_sel:BYTE_0 src1_sel:DWORD
	s_and_b64 vcc, exec, s[2:3]
	s_cbranch_vccnz .LBB2_251
; %bb.246:                              ;   in Loop: Header=BB2_84 Depth=1
	v_cmp_ne_u16_sdwa s[2:3], s55, v0 src0_sel:BYTE_0 src1_sel:DWORD
	s_and_b64 vcc, exec, s[2:3]
	s_cbranch_vccz .LBB2_248
; %bb.247:                              ;   in Loop: Header=BB2_84 Depth=1
	s_add_u32 s8, s36, 0x1000
	s_addc_u32 s9, s37, 0
	s_mov_b64 s[4:5], s[38:39]
	s_mov_b64 s[10:11], s[34:35]
	s_mov_b32 s12, s45
	s_mov_b32 s13, s44
	;; [unrolled: 1-line block ×3, first 2 shown]
	v_mov_b32_e32 v31, v40
	s_getpc_b64 s[0:1]
	s_add_u32 s0, s0, _Z50ncclDevFunc_AllReduce_RING_SIMPLE_MinMax_f16_1_0_4v@rel32@lo+4
	s_addc_u32 s1, s1, _Z50ncclDevFunc_AllReduce_RING_SIMPLE_MinMax_f16_1_0_4v@rel32@hi+12
	s_swappc_b64 s[30:31], s[0:1]
	s_mov_b64 s[0:1], 0
.LBB2_248:                              ;   in Loop: Header=BB2_84 Depth=1
	s_andn2_b64 vcc, exec, s[0:1]
	s_cbranch_vccnz .LBB2_250
; %bb.249:                              ;   in Loop: Header=BB2_84 Depth=1
	s_add_u32 s8, s36, 0x1000
	s_addc_u32 s9, s37, 0
	s_mov_b64 s[4:5], s[38:39]
	s_mov_b64 s[10:11], s[34:35]
	s_mov_b32 s12, s45
	s_mov_b32 s13, s44
	;; [unrolled: 1-line block ×3, first 2 shown]
	v_mov_b32_e32 v31, v40
	s_getpc_b64 s[0:1]
	s_add_u32 s0, s0, _Z50ncclDevFunc_AllReduce_RING_SIMPLE_MinMax_f16_0_0_4v@rel32@lo+4
	s_addc_u32 s1, s1, _Z50ncclDevFunc_AllReduce_RING_SIMPLE_MinMax_f16_0_0_4v@rel32@hi+12
	s_swappc_b64 s[30:31], s[0:1]
.LBB2_250:                              ;   in Loop: Header=BB2_84 Depth=1
	s_mov_b64 s[0:1], 0
.LBB2_251:                              ;   in Loop: Header=BB2_84 Depth=1
	s_andn2_b64 vcc, exec, s[0:1]
	s_cbranch_vccnz .LBB2_253
; %bb.252:                              ;   in Loop: Header=BB2_84 Depth=1
	s_add_u32 s8, s36, 0x1000
	s_addc_u32 s9, s37, 0
	s_mov_b64 s[4:5], s[38:39]
	s_mov_b64 s[10:11], s[34:35]
	s_mov_b32 s12, s45
	s_mov_b32 s13, s44
	;; [unrolled: 1-line block ×3, first 2 shown]
	v_mov_b32_e32 v31, v40
	s_getpc_b64 s[0:1]
	s_add_u32 s0, s0, _Z50ncclDevFunc_AllReduce_RING_SIMPLE_MinMax_u64_1_0_4v@rel32@lo+4
	s_addc_u32 s1, s1, _Z50ncclDevFunc_AllReduce_RING_SIMPLE_MinMax_u64_1_0_4v@rel32@hi+12
	s_swappc_b64 s[30:31], s[0:1]
.LBB2_253:                              ;   in Loop: Header=BB2_84 Depth=1
	s_mov_b64 s[0:1], 0
.LBB2_254:                              ;   in Loop: Header=BB2_84 Depth=1
	s_and_b64 vcc, exec, s[0:1]
	s_cbranch_vccz .LBB2_259
; %bb.255:                              ;   in Loop: Header=BB2_84 Depth=1
	s_cmpk_eq_i32 s55, 0x87
	s_mov_b64 s[0:1], -1
	s_cbranch_scc1 .LBB2_257
; %bb.256:                              ;   in Loop: Header=BB2_84 Depth=1
	s_add_u32 s8, s36, 0x1000
	s_addc_u32 s9, s37, 0
	s_mov_b64 s[4:5], s[38:39]
	s_mov_b64 s[10:11], s[34:35]
	s_mov_b32 s12, s45
	s_mov_b32 s13, s44
	;; [unrolled: 1-line block ×3, first 2 shown]
	v_mov_b32_e32 v31, v40
	s_getpc_b64 s[0:1]
	s_add_u32 s0, s0, _Z50ncclDevFunc_AllReduce_RING_SIMPLE_MinMax_u32_1_0_4v@rel32@lo+4
	s_addc_u32 s1, s1, _Z50ncclDevFunc_AllReduce_RING_SIMPLE_MinMax_u32_1_0_4v@rel32@hi+12
	s_swappc_b64 s[30:31], s[0:1]
	s_mov_b64 s[0:1], 0
.LBB2_257:                              ;   in Loop: Header=BB2_84 Depth=1
	s_andn2_b64 vcc, exec, s[0:1]
	s_cbranch_vccnz .LBB2_259
; %bb.258:                              ;   in Loop: Header=BB2_84 Depth=1
	s_add_u32 s8, s36, 0x1000
	s_addc_u32 s9, s37, 0
	s_mov_b64 s[4:5], s[38:39]
	s_mov_b64 s[10:11], s[34:35]
	s_mov_b32 s12, s45
	s_mov_b32 s13, s44
	;; [unrolled: 1-line block ×3, first 2 shown]
	v_mov_b32_e32 v31, v40
	s_getpc_b64 s[0:1]
	s_add_u32 s0, s0, _Z50ncclDevFunc_AllReduce_RING_SIMPLE_MinMax_u64_0_0_4v@rel32@lo+4
	s_addc_u32 s1, s1, _Z50ncclDevFunc_AllReduce_RING_SIMPLE_MinMax_u64_0_0_4v@rel32@hi+12
	s_swappc_b64 s[30:31], s[0:1]
.LBB2_259:                              ;   in Loop: Header=BB2_84 Depth=1
	s_mov_b64 s[0:1], 0
.LBB2_260:                              ;   in Loop: Header=BB2_84 Depth=1
	s_andn2_b64 vcc, exec, s[0:1]
	s_cbranch_vccnz .LBB2_422
; %bb.261:                              ;   in Loop: Header=BB2_84 Depth=1
	s_cmpk_gt_u32 s55, 0x6e
	s_mov_b64 s[0:1], -1
	s_cbranch_scc0 .LBB2_344
; %bb.262:                              ;   in Loop: Header=BB2_84 Depth=1
	s_cmpk_gt_u32 s55, 0x79
	s_cbranch_scc0 .LBB2_305
; %bb.263:                              ;   in Loop: Header=BB2_84 Depth=1
	s_cmpk_gt_u32 s55, 0x7f
	;; [unrolled: 3-line block ×3, first 2 shown]
	s_cbranch_scc0 .LBB2_274
; %bb.265:                              ;   in Loop: Header=BB2_84 Depth=1
	v_mov_b32_e32 v0, 0x84
	v_cmp_lt_i16_sdwa s[2:3], s55, v0 src0_sel:BYTE_0 src1_sel:DWORD
	s_and_b64 vcc, exec, s[2:3]
	s_cbranch_vccnz .LBB2_271
; %bb.266:                              ;   in Loop: Header=BB2_84 Depth=1
	v_cmp_ne_u16_sdwa s[2:3], s55, v0 src0_sel:BYTE_0 src1_sel:DWORD
	s_and_b64 vcc, exec, s[2:3]
	s_cbranch_vccz .LBB2_268
; %bb.267:                              ;   in Loop: Header=BB2_84 Depth=1
	s_add_u32 s8, s36, 0x1000
	s_addc_u32 s9, s37, 0
	s_mov_b64 s[4:5], s[38:39]
	s_mov_b64 s[10:11], s[34:35]
	s_mov_b32 s12, s45
	s_mov_b32 s13, s44
	;; [unrolled: 1-line block ×3, first 2 shown]
	v_mov_b32_e32 v31, v40
	s_getpc_b64 s[0:1]
	s_add_u32 s0, s0, _Z50ncclDevFunc_AllReduce_RING_SIMPLE_MinMax_u32_0_0_4v@rel32@lo+4
	s_addc_u32 s1, s1, _Z50ncclDevFunc_AllReduce_RING_SIMPLE_MinMax_u32_0_0_4v@rel32@hi+12
	s_swappc_b64 s[30:31], s[0:1]
	s_mov_b64 s[0:1], 0
.LBB2_268:                              ;   in Loop: Header=BB2_84 Depth=1
	s_andn2_b64 vcc, exec, s[0:1]
	s_cbranch_vccnz .LBB2_270
; %bb.269:                              ;   in Loop: Header=BB2_84 Depth=1
	s_add_u32 s8, s36, 0x1000
	s_addc_u32 s9, s37, 0
	s_mov_b64 s[4:5], s[38:39]
	s_mov_b64 s[10:11], s[34:35]
	s_mov_b32 s12, s45
	s_mov_b32 s13, s44
	;; [unrolled: 1-line block ×3, first 2 shown]
	v_mov_b32_e32 v31, v40
	s_getpc_b64 s[0:1]
	s_add_u32 s0, s0, _Z49ncclDevFunc_AllReduce_RING_SIMPLE_MinMax_u8_1_0_4v@rel32@lo+4
	s_addc_u32 s1, s1, _Z49ncclDevFunc_AllReduce_RING_SIMPLE_MinMax_u8_1_0_4v@rel32@hi+12
	s_swappc_b64 s[30:31], s[0:1]
.LBB2_270:                              ;   in Loop: Header=BB2_84 Depth=1
	s_mov_b64 s[0:1], 0
.LBB2_271:                              ;   in Loop: Header=BB2_84 Depth=1
	s_andn2_b64 vcc, exec, s[0:1]
	s_cbranch_vccnz .LBB2_273
; %bb.272:                              ;   in Loop: Header=BB2_84 Depth=1
	s_add_u32 s8, s36, 0x1000
	s_addc_u32 s9, s37, 0
	s_mov_b64 s[4:5], s[38:39]
	s_mov_b64 s[10:11], s[34:35]
	s_mov_b32 s12, s45
	s_mov_b32 s13, s44
	;; [unrolled: 1-line block ×3, first 2 shown]
	v_mov_b32_e32 v31, v40
	s_getpc_b64 s[0:1]
	s_add_u32 s0, s0, _Z49ncclDevFunc_AllReduce_RING_SIMPLE_MinMax_u8_0_0_4v@rel32@lo+4
	s_addc_u32 s1, s1, _Z49ncclDevFunc_AllReduce_RING_SIMPLE_MinMax_u8_0_0_4v@rel32@hi+12
	s_swappc_b64 s[30:31], s[0:1]
.LBB2_273:                              ;   in Loop: Header=BB2_84 Depth=1
	s_mov_b64 s[0:1], 0
.LBB2_274:                              ;   in Loop: Header=BB2_84 Depth=1
	s_and_b64 vcc, exec, s[0:1]
	s_cbranch_vccz .LBB2_283
; %bb.275:                              ;   in Loop: Header=BB2_84 Depth=1
	v_mov_b32_e32 v0, 0x81
	v_cmp_lt_i16_sdwa s[2:3], s55, v0 src0_sel:BYTE_0 src1_sel:DWORD
	s_mov_b64 s[0:1], -1
	s_and_b64 vcc, exec, s[2:3]
	s_cbranch_vccnz .LBB2_281
; %bb.276:                              ;   in Loop: Header=BB2_84 Depth=1
	v_cmp_ne_u16_sdwa s[2:3], s55, v0 src0_sel:BYTE_0 src1_sel:DWORD
	s_and_b64 vcc, exec, s[2:3]
	s_cbranch_vccz .LBB2_278
; %bb.277:                              ;   in Loop: Header=BB2_84 Depth=1
	s_add_u32 s8, s36, 0x1000
	s_addc_u32 s9, s37, 0
	s_mov_b64 s[4:5], s[38:39]
	s_mov_b64 s[10:11], s[34:35]
	s_mov_b32 s12, s45
	s_mov_b32 s13, s44
	;; [unrolled: 1-line block ×3, first 2 shown]
	v_mov_b32_e32 v31, v40
	s_getpc_b64 s[0:1]
	s_add_u32 s0, s0, _Z51ncclDevFunc_AllReduce_RING_SIMPLE_Prod_f8e5m2_1_0_4v@rel32@lo+4
	s_addc_u32 s1, s1, _Z51ncclDevFunc_AllReduce_RING_SIMPLE_Prod_f8e5m2_1_0_4v@rel32@hi+12
	s_swappc_b64 s[30:31], s[0:1]
	s_mov_b64 s[0:1], 0
.LBB2_278:                              ;   in Loop: Header=BB2_84 Depth=1
	s_andn2_b64 vcc, exec, s[0:1]
	s_cbranch_vccnz .LBB2_280
; %bb.279:                              ;   in Loop: Header=BB2_84 Depth=1
	s_add_u32 s8, s36, 0x1000
	s_addc_u32 s9, s37, 0
	s_mov_b64 s[4:5], s[38:39]
	s_mov_b64 s[10:11], s[34:35]
	s_mov_b32 s12, s45
	s_mov_b32 s13, s44
	s_mov_b32 s14, s33
	v_mov_b32_e32 v31, v40
	s_getpc_b64 s[0:1]
	s_add_u32 s0, s0, _Z51ncclDevFunc_AllReduce_RING_SIMPLE_Prod_f8e5m2_0_0_4v@rel32@lo+4
	s_addc_u32 s1, s1, _Z51ncclDevFunc_AllReduce_RING_SIMPLE_Prod_f8e5m2_0_0_4v@rel32@hi+12
	s_swappc_b64 s[30:31], s[0:1]
.LBB2_280:                              ;   in Loop: Header=BB2_84 Depth=1
	s_mov_b64 s[0:1], 0
.LBB2_281:                              ;   in Loop: Header=BB2_84 Depth=1
	s_andn2_b64 vcc, exec, s[0:1]
	s_cbranch_vccnz .LBB2_283
; %bb.282:                              ;   in Loop: Header=BB2_84 Depth=1
	s_add_u32 s8, s36, 0x1000
	s_addc_u32 s9, s37, 0
	s_mov_b64 s[4:5], s[38:39]
	s_mov_b64 s[10:11], s[34:35]
	s_mov_b32 s12, s45
	s_mov_b32 s13, s44
	;; [unrolled: 1-line block ×3, first 2 shown]
	v_mov_b32_e32 v31, v40
	s_getpc_b64 s[0:1]
	s_add_u32 s0, s0, _Z51ncclDevFunc_AllReduce_RING_SIMPLE_Prod_f8e4m3_1_0_4v@rel32@lo+4
	s_addc_u32 s1, s1, _Z51ncclDevFunc_AllReduce_RING_SIMPLE_Prod_f8e4m3_1_0_4v@rel32@hi+12
	s_swappc_b64 s[30:31], s[0:1]
.LBB2_283:                              ;   in Loop: Header=BB2_84 Depth=1
	s_mov_b64 s[0:1], 0
.LBB2_284:                              ;   in Loop: Header=BB2_84 Depth=1
	s_andn2_b64 vcc, exec, s[0:1]
	s_cbranch_vccnz .LBB2_304
; %bb.285:                              ;   in Loop: Header=BB2_84 Depth=1
	s_cmpk_gt_u32 s55, 0x7c
	s_mov_b64 s[0:1], -1
	s_cbranch_scc0 .LBB2_295
; %bb.286:                              ;   in Loop: Header=BB2_84 Depth=1
	v_cmp_lt_i16_e32 vcc, s55, v60
	s_cbranch_vccnz .LBB2_292
; %bb.287:                              ;   in Loop: Header=BB2_84 Depth=1
	v_cmp_ne_u16_e32 vcc, s55, v60
	s_cbranch_vccz .LBB2_289
; %bb.288:                              ;   in Loop: Header=BB2_84 Depth=1
	s_add_u32 s8, s36, 0x1000
	s_addc_u32 s9, s37, 0
	s_mov_b64 s[4:5], s[38:39]
	s_mov_b64 s[10:11], s[34:35]
	s_mov_b32 s12, s45
	s_mov_b32 s13, s44
	;; [unrolled: 1-line block ×3, first 2 shown]
	v_mov_b32_e32 v31, v40
	s_getpc_b64 s[0:1]
	s_add_u32 s0, s0, _Z51ncclDevFunc_AllReduce_RING_SIMPLE_Prod_f8e4m3_0_0_4v@rel32@lo+4
	s_addc_u32 s1, s1, _Z51ncclDevFunc_AllReduce_RING_SIMPLE_Prod_f8e4m3_0_0_4v@rel32@hi+12
	s_swappc_b64 s[30:31], s[0:1]
	s_mov_b64 s[0:1], 0
.LBB2_289:                              ;   in Loop: Header=BB2_84 Depth=1
	s_andn2_b64 vcc, exec, s[0:1]
	s_cbranch_vccnz .LBB2_291
; %bb.290:                              ;   in Loop: Header=BB2_84 Depth=1
	s_add_u32 s8, s36, 0x1000
	s_addc_u32 s9, s37, 0
	s_mov_b64 s[4:5], s[38:39]
	s_mov_b64 s[10:11], s[34:35]
	s_mov_b32 s12, s45
	s_mov_b32 s13, s44
	;; [unrolled: 1-line block ×3, first 2 shown]
	v_mov_b32_e32 v31, v40
	s_getpc_b64 s[0:1]
	s_add_u32 s0, s0, _Z49ncclDevFunc_AllReduce_RING_SIMPLE_Prod_bf16_1_1_4v@rel32@lo+4
	s_addc_u32 s1, s1, _Z49ncclDevFunc_AllReduce_RING_SIMPLE_Prod_bf16_1_1_4v@rel32@hi+12
	s_swappc_b64 s[30:31], s[0:1]
.LBB2_291:                              ;   in Loop: Header=BB2_84 Depth=1
	s_mov_b64 s[0:1], 0
.LBB2_292:                              ;   in Loop: Header=BB2_84 Depth=1
	s_andn2_b64 vcc, exec, s[0:1]
	s_cbranch_vccnz .LBB2_294
; %bb.293:                              ;   in Loop: Header=BB2_84 Depth=1
	s_add_u32 s8, s36, 0x1000
	s_addc_u32 s9, s37, 0
	s_mov_b64 s[4:5], s[38:39]
	s_mov_b64 s[10:11], s[34:35]
	s_mov_b32 s12, s45
	s_mov_b32 s13, s44
	;; [unrolled: 1-line block ×3, first 2 shown]
	v_mov_b32_e32 v31, v40
	s_getpc_b64 s[0:1]
	s_add_u32 s0, s0, _Z49ncclDevFunc_AllReduce_RING_SIMPLE_Prod_bf16_1_0_4v@rel32@lo+4
	s_addc_u32 s1, s1, _Z49ncclDevFunc_AllReduce_RING_SIMPLE_Prod_bf16_1_0_4v@rel32@hi+12
	s_swappc_b64 s[30:31], s[0:1]
.LBB2_294:                              ;   in Loop: Header=BB2_84 Depth=1
	s_mov_b64 s[0:1], 0
.LBB2_295:                              ;   in Loop: Header=BB2_84 Depth=1
	s_and_b64 vcc, exec, s[0:1]
	s_cbranch_vccz .LBB2_304
; %bb.296:                              ;   in Loop: Header=BB2_84 Depth=1
	v_cmp_lt_i16_e32 vcc, s55, v61
	s_mov_b64 s[0:1], -1
	s_cbranch_vccnz .LBB2_302
; %bb.297:                              ;   in Loop: Header=BB2_84 Depth=1
	v_cmp_ne_u16_e32 vcc, s55, v61
	s_cbranch_vccz .LBB2_299
; %bb.298:                              ;   in Loop: Header=BB2_84 Depth=1
	s_add_u32 s8, s36, 0x1000
	s_addc_u32 s9, s37, 0
	s_mov_b64 s[4:5], s[38:39]
	s_mov_b64 s[10:11], s[34:35]
	s_mov_b32 s12, s45
	s_mov_b32 s13, s44
	;; [unrolled: 1-line block ×3, first 2 shown]
	v_mov_b32_e32 v31, v40
	s_getpc_b64 s[0:1]
	s_add_u32 s0, s0, _Z49ncclDevFunc_AllReduce_RING_SIMPLE_Prod_bf16_0_1_4v@rel32@lo+4
	s_addc_u32 s1, s1, _Z49ncclDevFunc_AllReduce_RING_SIMPLE_Prod_bf16_0_1_4v@rel32@hi+12
	s_swappc_b64 s[30:31], s[0:1]
	s_mov_b64 s[0:1], 0
.LBB2_299:                              ;   in Loop: Header=BB2_84 Depth=1
	s_andn2_b64 vcc, exec, s[0:1]
	s_cbranch_vccnz .LBB2_301
; %bb.300:                              ;   in Loop: Header=BB2_84 Depth=1
	s_add_u32 s8, s36, 0x1000
	s_addc_u32 s9, s37, 0
	s_mov_b64 s[4:5], s[38:39]
	s_mov_b64 s[10:11], s[34:35]
	s_mov_b32 s12, s45
	s_mov_b32 s13, s44
	;; [unrolled: 1-line block ×3, first 2 shown]
	v_mov_b32_e32 v31, v40
	s_getpc_b64 s[0:1]
	s_add_u32 s0, s0, _Z49ncclDevFunc_AllReduce_RING_SIMPLE_Prod_bf16_0_0_4v@rel32@lo+4
	s_addc_u32 s1, s1, _Z49ncclDevFunc_AllReduce_RING_SIMPLE_Prod_bf16_0_0_4v@rel32@hi+12
	s_swappc_b64 s[30:31], s[0:1]
.LBB2_301:                              ;   in Loop: Header=BB2_84 Depth=1
	s_mov_b64 s[0:1], 0
.LBB2_302:                              ;   in Loop: Header=BB2_84 Depth=1
	s_andn2_b64 vcc, exec, s[0:1]
	s_cbranch_vccnz .LBB2_304
; %bb.303:                              ;   in Loop: Header=BB2_84 Depth=1
	s_add_u32 s8, s36, 0x1000
	s_addc_u32 s9, s37, 0
	s_mov_b64 s[4:5], s[38:39]
	s_mov_b64 s[10:11], s[34:35]
	s_mov_b32 s12, s45
	s_mov_b32 s13, s44
	s_mov_b32 s14, s33
	v_mov_b32_e32 v31, v40
	s_getpc_b64 s[0:1]
	s_add_u32 s0, s0, _Z48ncclDevFunc_AllReduce_RING_SIMPLE_Prod_f64_1_0_4v@rel32@lo+4
	s_addc_u32 s1, s1, _Z48ncclDevFunc_AllReduce_RING_SIMPLE_Prod_f64_1_0_4v@rel32@hi+12
	s_swappc_b64 s[30:31], s[0:1]
.LBB2_304:                              ;   in Loop: Header=BB2_84 Depth=1
	s_mov_b64 s[0:1], 0
.LBB2_305:                              ;   in Loop: Header=BB2_84 Depth=1
	s_andn2_b64 vcc, exec, s[0:1]
	s_cbranch_vccnz .LBB2_343
; %bb.306:                              ;   in Loop: Header=BB2_84 Depth=1
	s_cmpk_gt_u32 s55, 0x73
	s_mov_b64 s[0:1], -1
	s_cbranch_scc0 .LBB2_327
; %bb.307:                              ;   in Loop: Header=BB2_84 Depth=1
	s_cmpk_gt_u32 s55, 0x76
	s_cbranch_scc0 .LBB2_317
; %bb.308:                              ;   in Loop: Header=BB2_84 Depth=1
	v_cmp_lt_i16_e32 vcc, s55, v62
	s_cbranch_vccnz .LBB2_314
; %bb.309:                              ;   in Loop: Header=BB2_84 Depth=1
	v_cmp_ne_u16_e32 vcc, s55, v62
	s_cbranch_vccz .LBB2_311
; %bb.310:                              ;   in Loop: Header=BB2_84 Depth=1
	s_add_u32 s8, s36, 0x1000
	s_addc_u32 s9, s37, 0
	s_mov_b64 s[4:5], s[38:39]
	s_mov_b64 s[10:11], s[34:35]
	s_mov_b32 s12, s45
	s_mov_b32 s13, s44
	;; [unrolled: 1-line block ×3, first 2 shown]
	v_mov_b32_e32 v31, v40
	s_getpc_b64 s[0:1]
	s_add_u32 s0, s0, _Z48ncclDevFunc_AllReduce_RING_SIMPLE_Prod_f64_0_0_4v@rel32@lo+4
	s_addc_u32 s1, s1, _Z48ncclDevFunc_AllReduce_RING_SIMPLE_Prod_f64_0_0_4v@rel32@hi+12
	s_swappc_b64 s[30:31], s[0:1]
	s_mov_b64 s[0:1], 0
.LBB2_311:                              ;   in Loop: Header=BB2_84 Depth=1
	s_andn2_b64 vcc, exec, s[0:1]
	s_cbranch_vccnz .LBB2_313
; %bb.312:                              ;   in Loop: Header=BB2_84 Depth=1
	s_add_u32 s8, s36, 0x1000
	s_addc_u32 s9, s37, 0
	s_mov_b64 s[4:5], s[38:39]
	s_mov_b64 s[10:11], s[34:35]
	s_mov_b32 s12, s45
	s_mov_b32 s13, s44
	;; [unrolled: 1-line block ×3, first 2 shown]
	v_mov_b32_e32 v31, v40
	s_getpc_b64 s[0:1]
	s_add_u32 s0, s0, _Z48ncclDevFunc_AllReduce_RING_SIMPLE_Prod_f32_1_0_4v@rel32@lo+4
	s_addc_u32 s1, s1, _Z48ncclDevFunc_AllReduce_RING_SIMPLE_Prod_f32_1_0_4v@rel32@hi+12
	s_swappc_b64 s[30:31], s[0:1]
.LBB2_313:                              ;   in Loop: Header=BB2_84 Depth=1
	s_mov_b64 s[0:1], 0
.LBB2_314:                              ;   in Loop: Header=BB2_84 Depth=1
	s_andn2_b64 vcc, exec, s[0:1]
	s_cbranch_vccnz .LBB2_316
; %bb.315:                              ;   in Loop: Header=BB2_84 Depth=1
	s_add_u32 s8, s36, 0x1000
	s_addc_u32 s9, s37, 0
	s_mov_b64 s[4:5], s[38:39]
	s_mov_b64 s[10:11], s[34:35]
	s_mov_b32 s12, s45
	s_mov_b32 s13, s44
	;; [unrolled: 1-line block ×3, first 2 shown]
	v_mov_b32_e32 v31, v40
	s_getpc_b64 s[0:1]
	s_add_u32 s0, s0, _Z48ncclDevFunc_AllReduce_RING_SIMPLE_Prod_f32_0_0_4v@rel32@lo+4
	s_addc_u32 s1, s1, _Z48ncclDevFunc_AllReduce_RING_SIMPLE_Prod_f32_0_0_4v@rel32@hi+12
	s_swappc_b64 s[30:31], s[0:1]
.LBB2_316:                              ;   in Loop: Header=BB2_84 Depth=1
	s_mov_b64 s[0:1], 0
.LBB2_317:                              ;   in Loop: Header=BB2_84 Depth=1
	s_and_b64 vcc, exec, s[0:1]
	s_cbranch_vccz .LBB2_326
; %bb.318:                              ;   in Loop: Header=BB2_84 Depth=1
	v_cmp_lt_i16_e32 vcc, s55, v63
	s_mov_b64 s[0:1], -1
	s_cbranch_vccnz .LBB2_324
; %bb.319:                              ;   in Loop: Header=BB2_84 Depth=1
	v_cmp_ne_u16_e32 vcc, s55, v63
	s_cbranch_vccz .LBB2_321
; %bb.320:                              ;   in Loop: Header=BB2_84 Depth=1
	s_add_u32 s8, s36, 0x1000
	s_addc_u32 s9, s37, 0
	s_mov_b64 s[4:5], s[38:39]
	s_mov_b64 s[10:11], s[34:35]
	s_mov_b32 s12, s45
	s_mov_b32 s13, s44
	;; [unrolled: 1-line block ×3, first 2 shown]
	v_mov_b32_e32 v31, v40
	s_getpc_b64 s[0:1]
	s_add_u32 s0, s0, _Z48ncclDevFunc_AllReduce_RING_SIMPLE_Prod_f16_1_0_4v@rel32@lo+4
	s_addc_u32 s1, s1, _Z48ncclDevFunc_AllReduce_RING_SIMPLE_Prod_f16_1_0_4v@rel32@hi+12
	s_swappc_b64 s[30:31], s[0:1]
	s_mov_b64 s[0:1], 0
.LBB2_321:                              ;   in Loop: Header=BB2_84 Depth=1
	s_andn2_b64 vcc, exec, s[0:1]
	s_cbranch_vccnz .LBB2_323
; %bb.322:                              ;   in Loop: Header=BB2_84 Depth=1
	s_add_u32 s8, s36, 0x1000
	s_addc_u32 s9, s37, 0
	s_mov_b64 s[4:5], s[38:39]
	s_mov_b64 s[10:11], s[34:35]
	s_mov_b32 s12, s45
	s_mov_b32 s13, s44
	;; [unrolled: 1-line block ×3, first 2 shown]
	v_mov_b32_e32 v31, v40
	s_getpc_b64 s[0:1]
	s_add_u32 s0, s0, _Z48ncclDevFunc_AllReduce_RING_SIMPLE_Prod_f16_0_0_4v@rel32@lo+4
	s_addc_u32 s1, s1, _Z48ncclDevFunc_AllReduce_RING_SIMPLE_Prod_f16_0_0_4v@rel32@hi+12
	s_swappc_b64 s[30:31], s[0:1]
.LBB2_323:                              ;   in Loop: Header=BB2_84 Depth=1
	s_mov_b64 s[0:1], 0
.LBB2_324:                              ;   in Loop: Header=BB2_84 Depth=1
	s_andn2_b64 vcc, exec, s[0:1]
	s_cbranch_vccnz .LBB2_326
; %bb.325:                              ;   in Loop: Header=BB2_84 Depth=1
	s_add_u32 s8, s36, 0x1000
	s_addc_u32 s9, s37, 0
	s_mov_b64 s[4:5], s[38:39]
	s_mov_b64 s[10:11], s[34:35]
	s_mov_b32 s12, s45
	s_mov_b32 s13, s44
	;; [unrolled: 1-line block ×3, first 2 shown]
	v_mov_b32_e32 v31, v40
	s_getpc_b64 s[0:1]
	s_add_u32 s0, s0, _Z48ncclDevFunc_AllReduce_RING_SIMPLE_Prod_u64_1_0_4v@rel32@lo+4
	s_addc_u32 s1, s1, _Z48ncclDevFunc_AllReduce_RING_SIMPLE_Prod_u64_1_0_4v@rel32@hi+12
	s_swappc_b64 s[30:31], s[0:1]
.LBB2_326:                              ;   in Loop: Header=BB2_84 Depth=1
	s_mov_b64 s[0:1], 0
.LBB2_327:                              ;   in Loop: Header=BB2_84 Depth=1
	s_andn2_b64 vcc, exec, s[0:1]
	s_cbranch_vccnz .LBB2_343
; %bb.328:                              ;   in Loop: Header=BB2_84 Depth=1
	s_cmpk_gt_u32 s55, 0x70
	s_mov_b64 s[0:1], -1
	s_cbranch_scc0 .LBB2_338
; %bb.329:                              ;   in Loop: Header=BB2_84 Depth=1
	v_cmp_lt_i16_e32 vcc, s55, v72
	s_cbranch_vccnz .LBB2_335
; %bb.330:                              ;   in Loop: Header=BB2_84 Depth=1
	v_cmp_ne_u16_e32 vcc, s55, v72
	s_cbranch_vccz .LBB2_332
; %bb.331:                              ;   in Loop: Header=BB2_84 Depth=1
	s_add_u32 s8, s36, 0x1000
	s_addc_u32 s9, s37, 0
	s_mov_b64 s[4:5], s[38:39]
	s_mov_b64 s[10:11], s[34:35]
	s_mov_b32 s12, s45
	s_mov_b32 s13, s44
	;; [unrolled: 1-line block ×3, first 2 shown]
	v_mov_b32_e32 v31, v40
	s_getpc_b64 s[0:1]
	s_add_u32 s0, s0, _Z48ncclDevFunc_AllReduce_RING_SIMPLE_Prod_u64_0_0_4v@rel32@lo+4
	s_addc_u32 s1, s1, _Z48ncclDevFunc_AllReduce_RING_SIMPLE_Prod_u64_0_0_4v@rel32@hi+12
	s_swappc_b64 s[30:31], s[0:1]
	s_mov_b64 s[0:1], 0
.LBB2_332:                              ;   in Loop: Header=BB2_84 Depth=1
	s_andn2_b64 vcc, exec, s[0:1]
	s_cbranch_vccnz .LBB2_334
; %bb.333:                              ;   in Loop: Header=BB2_84 Depth=1
	s_add_u32 s8, s36, 0x1000
	s_addc_u32 s9, s37, 0
	s_mov_b64 s[4:5], s[38:39]
	s_mov_b64 s[10:11], s[34:35]
	s_mov_b32 s12, s45
	s_mov_b32 s13, s44
	;; [unrolled: 1-line block ×3, first 2 shown]
	v_mov_b32_e32 v31, v40
	s_getpc_b64 s[0:1]
	s_add_u32 s0, s0, _Z48ncclDevFunc_AllReduce_RING_SIMPLE_Prod_u32_1_0_4v@rel32@lo+4
	s_addc_u32 s1, s1, _Z48ncclDevFunc_AllReduce_RING_SIMPLE_Prod_u32_1_0_4v@rel32@hi+12
	s_swappc_b64 s[30:31], s[0:1]
.LBB2_334:                              ;   in Loop: Header=BB2_84 Depth=1
	s_mov_b64 s[0:1], 0
.LBB2_335:                              ;   in Loop: Header=BB2_84 Depth=1
	s_andn2_b64 vcc, exec, s[0:1]
	s_cbranch_vccnz .LBB2_337
; %bb.336:                              ;   in Loop: Header=BB2_84 Depth=1
	s_add_u32 s8, s36, 0x1000
	s_addc_u32 s9, s37, 0
	s_mov_b64 s[4:5], s[38:39]
	s_mov_b64 s[10:11], s[34:35]
	s_mov_b32 s12, s45
	s_mov_b32 s13, s44
	;; [unrolled: 1-line block ×3, first 2 shown]
	v_mov_b32_e32 v31, v40
	s_getpc_b64 s[0:1]
	s_add_u32 s0, s0, _Z48ncclDevFunc_AllReduce_RING_SIMPLE_Prod_u32_0_0_4v@rel32@lo+4
	s_addc_u32 s1, s1, _Z48ncclDevFunc_AllReduce_RING_SIMPLE_Prod_u32_0_0_4v@rel32@hi+12
	s_swappc_b64 s[30:31], s[0:1]
.LBB2_337:                              ;   in Loop: Header=BB2_84 Depth=1
	s_mov_b64 s[0:1], 0
.LBB2_338:                              ;   in Loop: Header=BB2_84 Depth=1
	s_and_b64 vcc, exec, s[0:1]
	s_cbranch_vccz .LBB2_343
; %bb.339:                              ;   in Loop: Header=BB2_84 Depth=1
	s_cmpk_eq_i32 s55, 0x70
	s_mov_b64 s[0:1], -1
	s_cbranch_scc1 .LBB2_341
; %bb.340:                              ;   in Loop: Header=BB2_84 Depth=1
	s_add_u32 s8, s36, 0x1000
	s_addc_u32 s9, s37, 0
	s_mov_b64 s[4:5], s[38:39]
	s_mov_b64 s[10:11], s[34:35]
	s_mov_b32 s12, s45
	s_mov_b32 s13, s44
	;; [unrolled: 1-line block ×3, first 2 shown]
	v_mov_b32_e32 v31, v40
	s_getpc_b64 s[0:1]
	s_add_u32 s0, s0, _Z47ncclDevFunc_AllReduce_RING_SIMPLE_Prod_u8_0_0_4v@rel32@lo+4
	s_addc_u32 s1, s1, _Z47ncclDevFunc_AllReduce_RING_SIMPLE_Prod_u8_0_0_4v@rel32@hi+12
	s_swappc_b64 s[30:31], s[0:1]
	s_mov_b64 s[0:1], 0
.LBB2_341:                              ;   in Loop: Header=BB2_84 Depth=1
	s_andn2_b64 vcc, exec, s[0:1]
	s_cbranch_vccnz .LBB2_343
; %bb.342:                              ;   in Loop: Header=BB2_84 Depth=1
	s_add_u32 s8, s36, 0x1000
	s_addc_u32 s9, s37, 0
	s_mov_b64 s[4:5], s[38:39]
	s_mov_b64 s[10:11], s[34:35]
	s_mov_b32 s12, s45
	s_mov_b32 s13, s44
	s_mov_b32 s14, s33
	v_mov_b32_e32 v31, v40
	s_getpc_b64 s[0:1]
	s_add_u32 s0, s0, _Z47ncclDevFunc_AllReduce_RING_SIMPLE_Prod_u8_1_0_4v@rel32@lo+4
	s_addc_u32 s1, s1, _Z47ncclDevFunc_AllReduce_RING_SIMPLE_Prod_u8_1_0_4v@rel32@hi+12
	s_swappc_b64 s[30:31], s[0:1]
.LBB2_343:                              ;   in Loop: Header=BB2_84 Depth=1
	s_mov_b64 s[0:1], 0
.LBB2_344:                              ;   in Loop: Header=BB2_84 Depth=1
	s_andn2_b64 vcc, exec, s[0:1]
	s_cbranch_vccnz .LBB2_422
; %bb.345:                              ;   in Loop: Header=BB2_84 Depth=1
	s_cmpk_gt_u32 s55, 0x63
	s_mov_b64 s[0:1], -1
	s_cbranch_scc0 .LBB2_384
; %bb.346:                              ;   in Loop: Header=BB2_84 Depth=1
	s_cmpk_gt_u32 s55, 0x68
	s_cbranch_scc0 .LBB2_367
; %bb.347:                              ;   in Loop: Header=BB2_84 Depth=1
	s_cmpk_gt_u32 s55, 0x6b
	s_cbranch_scc0 .LBB2_357
; %bb.348:                              ;   in Loop: Header=BB2_84 Depth=1
	v_cmp_lt_i16_e32 vcc, s55, v73
	s_cbranch_vccnz .LBB2_354
; %bb.349:                              ;   in Loop: Header=BB2_84 Depth=1
	v_cmp_ne_u16_e32 vcc, s55, v73
	s_cbranch_vccz .LBB2_351
; %bb.350:                              ;   in Loop: Header=BB2_84 Depth=1
	s_add_u32 s8, s36, 0x1000
	s_addc_u32 s9, s37, 0
	s_mov_b64 s[4:5], s[38:39]
	s_mov_b64 s[10:11], s[34:35]
	s_mov_b32 s12, s45
	s_mov_b32 s13, s44
	;; [unrolled: 1-line block ×3, first 2 shown]
	v_mov_b32_e32 v31, v40
	s_getpc_b64 s[0:1]
	s_add_u32 s0, s0, _Z50ncclDevFunc_AllReduce_RING_SIMPLE_Sum_f8e5m2_1_0_4v@rel32@lo+4
	s_addc_u32 s1, s1, _Z50ncclDevFunc_AllReduce_RING_SIMPLE_Sum_f8e5m2_1_0_4v@rel32@hi+12
	s_swappc_b64 s[30:31], s[0:1]
	s_mov_b64 s[0:1], 0
.LBB2_351:                              ;   in Loop: Header=BB2_84 Depth=1
	s_andn2_b64 vcc, exec, s[0:1]
	s_cbranch_vccnz .LBB2_353
; %bb.352:                              ;   in Loop: Header=BB2_84 Depth=1
	s_add_u32 s8, s36, 0x1000
	s_addc_u32 s9, s37, 0
	s_mov_b64 s[4:5], s[38:39]
	s_mov_b64 s[10:11], s[34:35]
	s_mov_b32 s12, s45
	s_mov_b32 s13, s44
	;; [unrolled: 1-line block ×3, first 2 shown]
	v_mov_b32_e32 v31, v40
	s_getpc_b64 s[0:1]
	s_add_u32 s0, s0, _Z50ncclDevFunc_AllReduce_RING_SIMPLE_Sum_f8e5m2_0_0_4v@rel32@lo+4
	s_addc_u32 s1, s1, _Z50ncclDevFunc_AllReduce_RING_SIMPLE_Sum_f8e5m2_0_0_4v@rel32@hi+12
	s_swappc_b64 s[30:31], s[0:1]
.LBB2_353:                              ;   in Loop: Header=BB2_84 Depth=1
	s_mov_b64 s[0:1], 0
.LBB2_354:                              ;   in Loop: Header=BB2_84 Depth=1
	s_andn2_b64 vcc, exec, s[0:1]
	s_cbranch_vccnz .LBB2_356
; %bb.355:                              ;   in Loop: Header=BB2_84 Depth=1
	s_add_u32 s8, s36, 0x1000
	s_addc_u32 s9, s37, 0
	s_mov_b64 s[4:5], s[38:39]
	s_mov_b64 s[10:11], s[34:35]
	s_mov_b32 s12, s45
	s_mov_b32 s13, s44
	;; [unrolled: 1-line block ×3, first 2 shown]
	v_mov_b32_e32 v31, v40
	s_getpc_b64 s[0:1]
	s_add_u32 s0, s0, _Z50ncclDevFunc_AllReduce_RING_SIMPLE_Sum_f8e4m3_1_0_4v@rel32@lo+4
	s_addc_u32 s1, s1, _Z50ncclDevFunc_AllReduce_RING_SIMPLE_Sum_f8e4m3_1_0_4v@rel32@hi+12
	s_swappc_b64 s[30:31], s[0:1]
.LBB2_356:                              ;   in Loop: Header=BB2_84 Depth=1
	s_mov_b64 s[0:1], 0
.LBB2_357:                              ;   in Loop: Header=BB2_84 Depth=1
	s_and_b64 vcc, exec, s[0:1]
	s_cbranch_vccz .LBB2_366
; %bb.358:                              ;   in Loop: Header=BB2_84 Depth=1
	v_cmp_lt_i16_e32 vcc, s55, v74
	s_mov_b64 s[0:1], -1
	s_cbranch_vccnz .LBB2_364
; %bb.359:                              ;   in Loop: Header=BB2_84 Depth=1
	v_cmp_ne_u16_e32 vcc, s55, v74
	s_cbranch_vccz .LBB2_361
; %bb.360:                              ;   in Loop: Header=BB2_84 Depth=1
	s_add_u32 s8, s36, 0x1000
	s_addc_u32 s9, s37, 0
	s_mov_b64 s[4:5], s[38:39]
	s_mov_b64 s[10:11], s[34:35]
	s_mov_b32 s12, s45
	s_mov_b32 s13, s44
	;; [unrolled: 1-line block ×3, first 2 shown]
	v_mov_b32_e32 v31, v40
	s_getpc_b64 s[0:1]
	s_add_u32 s0, s0, _Z50ncclDevFunc_AllReduce_RING_SIMPLE_Sum_f8e4m3_0_0_4v@rel32@lo+4
	s_addc_u32 s1, s1, _Z50ncclDevFunc_AllReduce_RING_SIMPLE_Sum_f8e4m3_0_0_4v@rel32@hi+12
	s_swappc_b64 s[30:31], s[0:1]
	s_mov_b64 s[0:1], 0
.LBB2_361:                              ;   in Loop: Header=BB2_84 Depth=1
	s_andn2_b64 vcc, exec, s[0:1]
	s_cbranch_vccnz .LBB2_363
; %bb.362:                              ;   in Loop: Header=BB2_84 Depth=1
	s_add_u32 s8, s36, 0x1000
	s_addc_u32 s9, s37, 0
	s_mov_b64 s[4:5], s[38:39]
	s_mov_b64 s[10:11], s[34:35]
	s_mov_b32 s12, s45
	s_mov_b32 s13, s44
	;; [unrolled: 1-line block ×3, first 2 shown]
	v_mov_b32_e32 v31, v40
	s_getpc_b64 s[0:1]
	s_add_u32 s0, s0, _Z48ncclDevFunc_AllReduce_RING_SIMPLE_Sum_bf16_1_1_4v@rel32@lo+4
	s_addc_u32 s1, s1, _Z48ncclDevFunc_AllReduce_RING_SIMPLE_Sum_bf16_1_1_4v@rel32@hi+12
	s_swappc_b64 s[30:31], s[0:1]
.LBB2_363:                              ;   in Loop: Header=BB2_84 Depth=1
	s_mov_b64 s[0:1], 0
.LBB2_364:                              ;   in Loop: Header=BB2_84 Depth=1
	s_andn2_b64 vcc, exec, s[0:1]
	s_cbranch_vccnz .LBB2_366
; %bb.365:                              ;   in Loop: Header=BB2_84 Depth=1
	s_add_u32 s8, s36, 0x1000
	s_addc_u32 s9, s37, 0
	s_mov_b64 s[4:5], s[38:39]
	s_mov_b64 s[10:11], s[34:35]
	s_mov_b32 s12, s45
	s_mov_b32 s13, s44
	;; [unrolled: 1-line block ×3, first 2 shown]
	v_mov_b32_e32 v31, v40
	s_getpc_b64 s[0:1]
	s_add_u32 s0, s0, _Z48ncclDevFunc_AllReduce_RING_SIMPLE_Sum_bf16_1_0_4v@rel32@lo+4
	s_addc_u32 s1, s1, _Z48ncclDevFunc_AllReduce_RING_SIMPLE_Sum_bf16_1_0_4v@rel32@hi+12
	s_swappc_b64 s[30:31], s[0:1]
.LBB2_366:                              ;   in Loop: Header=BB2_84 Depth=1
	s_mov_b64 s[0:1], 0
.LBB2_367:                              ;   in Loop: Header=BB2_84 Depth=1
	s_andn2_b64 vcc, exec, s[0:1]
	s_cbranch_vccnz .LBB2_383
; %bb.368:                              ;   in Loop: Header=BB2_84 Depth=1
	s_cmpk_gt_u32 s55, 0x65
	s_mov_b64 s[0:1], -1
	s_cbranch_scc0 .LBB2_378
; %bb.369:                              ;   in Loop: Header=BB2_84 Depth=1
	v_cmp_lt_i16_e32 vcc, s55, v75
	s_cbranch_vccnz .LBB2_375
; %bb.370:                              ;   in Loop: Header=BB2_84 Depth=1
	v_cmp_ne_u16_e32 vcc, s55, v75
	s_cbranch_vccz .LBB2_372
; %bb.371:                              ;   in Loop: Header=BB2_84 Depth=1
	s_add_u32 s8, s36, 0x1000
	s_addc_u32 s9, s37, 0
	s_mov_b64 s[4:5], s[38:39]
	s_mov_b64 s[10:11], s[34:35]
	s_mov_b32 s12, s45
	s_mov_b32 s13, s44
	;; [unrolled: 1-line block ×3, first 2 shown]
	v_mov_b32_e32 v31, v40
	s_getpc_b64 s[0:1]
	s_add_u32 s0, s0, _Z48ncclDevFunc_AllReduce_RING_SIMPLE_Sum_bf16_0_1_4v@rel32@lo+4
	s_addc_u32 s1, s1, _Z48ncclDevFunc_AllReduce_RING_SIMPLE_Sum_bf16_0_1_4v@rel32@hi+12
	s_swappc_b64 s[30:31], s[0:1]
	s_mov_b64 s[0:1], 0
.LBB2_372:                              ;   in Loop: Header=BB2_84 Depth=1
	s_andn2_b64 vcc, exec, s[0:1]
	s_cbranch_vccnz .LBB2_374
; %bb.373:                              ;   in Loop: Header=BB2_84 Depth=1
	s_add_u32 s8, s36, 0x1000
	s_addc_u32 s9, s37, 0
	s_mov_b64 s[4:5], s[38:39]
	s_mov_b64 s[10:11], s[34:35]
	s_mov_b32 s12, s45
	s_mov_b32 s13, s44
	;; [unrolled: 1-line block ×3, first 2 shown]
	v_mov_b32_e32 v31, v40
	s_getpc_b64 s[0:1]
	s_add_u32 s0, s0, _Z48ncclDevFunc_AllReduce_RING_SIMPLE_Sum_bf16_0_0_4v@rel32@lo+4
	s_addc_u32 s1, s1, _Z48ncclDevFunc_AllReduce_RING_SIMPLE_Sum_bf16_0_0_4v@rel32@hi+12
	s_swappc_b64 s[30:31], s[0:1]
.LBB2_374:                              ;   in Loop: Header=BB2_84 Depth=1
	s_mov_b64 s[0:1], 0
.LBB2_375:                              ;   in Loop: Header=BB2_84 Depth=1
	s_andn2_b64 vcc, exec, s[0:1]
	s_cbranch_vccnz .LBB2_377
; %bb.376:                              ;   in Loop: Header=BB2_84 Depth=1
	s_add_u32 s8, s36, 0x1000
	s_addc_u32 s9, s37, 0
	s_mov_b64 s[4:5], s[38:39]
	s_mov_b64 s[10:11], s[34:35]
	s_mov_b32 s12, s45
	s_mov_b32 s13, s44
	s_mov_b32 s14, s33
	v_mov_b32_e32 v31, v40
	s_getpc_b64 s[0:1]
	s_add_u32 s0, s0, _Z47ncclDevFunc_AllReduce_RING_SIMPLE_Sum_f64_1_0_4v@rel32@lo+4
	s_addc_u32 s1, s1, _Z47ncclDevFunc_AllReduce_RING_SIMPLE_Sum_f64_1_0_4v@rel32@hi+12
	s_swappc_b64 s[30:31], s[0:1]
.LBB2_377:                              ;   in Loop: Header=BB2_84 Depth=1
	s_mov_b64 s[0:1], 0
.LBB2_378:                              ;   in Loop: Header=BB2_84 Depth=1
	s_and_b64 vcc, exec, s[0:1]
	s_cbranch_vccz .LBB2_383
; %bb.379:                              ;   in Loop: Header=BB2_84 Depth=1
	s_cmpk_eq_i32 s55, 0x65
	s_mov_b64 s[0:1], -1
	s_cbranch_scc1 .LBB2_381
; %bb.380:                              ;   in Loop: Header=BB2_84 Depth=1
	s_add_u32 s8, s36, 0x1000
	s_addc_u32 s9, s37, 0
	s_mov_b64 s[4:5], s[38:39]
	s_mov_b64 s[10:11], s[34:35]
	s_mov_b32 s12, s45
	s_mov_b32 s13, s44
	;; [unrolled: 1-line block ×3, first 2 shown]
	v_mov_b32_e32 v31, v40
	s_getpc_b64 s[0:1]
	s_add_u32 s0, s0, _Z47ncclDevFunc_AllReduce_RING_SIMPLE_Sum_f32_1_0_4v@rel32@lo+4
	s_addc_u32 s1, s1, _Z47ncclDevFunc_AllReduce_RING_SIMPLE_Sum_f32_1_0_4v@rel32@hi+12
	s_swappc_b64 s[30:31], s[0:1]
	s_mov_b64 s[0:1], 0
.LBB2_381:                              ;   in Loop: Header=BB2_84 Depth=1
	s_andn2_b64 vcc, exec, s[0:1]
	s_cbranch_vccnz .LBB2_383
; %bb.382:                              ;   in Loop: Header=BB2_84 Depth=1
	s_add_u32 s8, s36, 0x1000
	s_addc_u32 s9, s37, 0
	s_mov_b64 s[4:5], s[38:39]
	s_mov_b64 s[10:11], s[34:35]
	s_mov_b32 s12, s45
	s_mov_b32 s13, s44
	;; [unrolled: 1-line block ×3, first 2 shown]
	v_mov_b32_e32 v31, v40
	s_getpc_b64 s[0:1]
	s_add_u32 s0, s0, _Z47ncclDevFunc_AllReduce_RING_SIMPLE_Sum_f64_0_0_4v@rel32@lo+4
	s_addc_u32 s1, s1, _Z47ncclDevFunc_AllReduce_RING_SIMPLE_Sum_f64_0_0_4v@rel32@hi+12
	s_swappc_b64 s[30:31], s[0:1]
.LBB2_383:                              ;   in Loop: Header=BB2_84 Depth=1
	s_mov_b64 s[0:1], 0
.LBB2_384:                              ;   in Loop: Header=BB2_84 Depth=1
	s_andn2_b64 vcc, exec, s[0:1]
	s_cbranch_vccnz .LBB2_422
; %bb.385:                              ;   in Loop: Header=BB2_84 Depth=1
	s_cmpk_gt_u32 s55, 0x5d
	s_mov_b64 s[0:1], -1
	s_cbranch_scc0 .LBB2_406
; %bb.386:                              ;   in Loop: Header=BB2_84 Depth=1
	s_cmpk_gt_u32 s55, 0x60
	s_cbranch_scc0 .LBB2_396
; %bb.387:                              ;   in Loop: Header=BB2_84 Depth=1
	v_cmp_lt_i16_e32 vcc, s55, v76
	s_cbranch_vccnz .LBB2_393
; %bb.388:                              ;   in Loop: Header=BB2_84 Depth=1
	v_cmp_ne_u16_e32 vcc, s55, v76
	s_cbranch_vccz .LBB2_390
; %bb.389:                              ;   in Loop: Header=BB2_84 Depth=1
	s_add_u32 s8, s36, 0x1000
	s_addc_u32 s9, s37, 0
	s_mov_b64 s[4:5], s[38:39]
	s_mov_b64 s[10:11], s[34:35]
	s_mov_b32 s12, s45
	s_mov_b32 s13, s44
	;; [unrolled: 1-line block ×3, first 2 shown]
	v_mov_b32_e32 v31, v40
	s_getpc_b64 s[0:1]
	s_add_u32 s0, s0, _Z47ncclDevFunc_AllReduce_RING_SIMPLE_Sum_f32_0_0_4v@rel32@lo+4
	s_addc_u32 s1, s1, _Z47ncclDevFunc_AllReduce_RING_SIMPLE_Sum_f32_0_0_4v@rel32@hi+12
	s_swappc_b64 s[30:31], s[0:1]
	s_mov_b64 s[0:1], 0
.LBB2_390:                              ;   in Loop: Header=BB2_84 Depth=1
	s_andn2_b64 vcc, exec, s[0:1]
	s_cbranch_vccnz .LBB2_392
; %bb.391:                              ;   in Loop: Header=BB2_84 Depth=1
	s_add_u32 s8, s36, 0x1000
	s_addc_u32 s9, s37, 0
	s_mov_b64 s[4:5], s[38:39]
	s_mov_b64 s[10:11], s[34:35]
	s_mov_b32 s12, s45
	s_mov_b32 s13, s44
	;; [unrolled: 1-line block ×3, first 2 shown]
	v_mov_b32_e32 v31, v40
	s_getpc_b64 s[0:1]
	s_add_u32 s0, s0, _Z47ncclDevFunc_AllReduce_RING_SIMPLE_Sum_f16_1_0_4v@rel32@lo+4
	s_addc_u32 s1, s1, _Z47ncclDevFunc_AllReduce_RING_SIMPLE_Sum_f16_1_0_4v@rel32@hi+12
	s_swappc_b64 s[30:31], s[0:1]
.LBB2_392:                              ;   in Loop: Header=BB2_84 Depth=1
	s_mov_b64 s[0:1], 0
.LBB2_393:                              ;   in Loop: Header=BB2_84 Depth=1
	s_andn2_b64 vcc, exec, s[0:1]
	s_cbranch_vccnz .LBB2_395
; %bb.394:                              ;   in Loop: Header=BB2_84 Depth=1
	s_add_u32 s8, s36, 0x1000
	s_addc_u32 s9, s37, 0
	s_mov_b64 s[4:5], s[38:39]
	s_mov_b64 s[10:11], s[34:35]
	s_mov_b32 s12, s45
	s_mov_b32 s13, s44
	s_mov_b32 s14, s33
	v_mov_b32_e32 v31, v40
	s_getpc_b64 s[0:1]
	s_add_u32 s0, s0, _Z47ncclDevFunc_AllReduce_RING_SIMPLE_Sum_f16_0_0_4v@rel32@lo+4
	s_addc_u32 s1, s1, _Z47ncclDevFunc_AllReduce_RING_SIMPLE_Sum_f16_0_0_4v@rel32@hi+12
	s_swappc_b64 s[30:31], s[0:1]
.LBB2_395:                              ;   in Loop: Header=BB2_84 Depth=1
	s_mov_b64 s[0:1], 0
.LBB2_396:                              ;   in Loop: Header=BB2_84 Depth=1
	s_and_b64 vcc, exec, s[0:1]
	s_cbranch_vccz .LBB2_405
; %bb.397:                              ;   in Loop: Header=BB2_84 Depth=1
	v_cmp_lt_i16_e32 vcc, s55, v77
	s_mov_b64 s[0:1], -1
	s_cbranch_vccnz .LBB2_403
; %bb.398:                              ;   in Loop: Header=BB2_84 Depth=1
	v_cmp_ne_u16_e32 vcc, s55, v77
	s_cbranch_vccz .LBB2_400
; %bb.399:                              ;   in Loop: Header=BB2_84 Depth=1
	s_add_u32 s8, s36, 0x1000
	s_addc_u32 s9, s37, 0
	s_mov_b64 s[4:5], s[38:39]
	s_mov_b64 s[10:11], s[34:35]
	s_mov_b32 s12, s45
	s_mov_b32 s13, s44
	;; [unrolled: 1-line block ×3, first 2 shown]
	v_mov_b32_e32 v31, v40
	s_getpc_b64 s[0:1]
	s_add_u32 s0, s0, _Z47ncclDevFunc_AllReduce_RING_SIMPLE_Sum_u64_1_0_4v@rel32@lo+4
	s_addc_u32 s1, s1, _Z47ncclDevFunc_AllReduce_RING_SIMPLE_Sum_u64_1_0_4v@rel32@hi+12
	s_swappc_b64 s[30:31], s[0:1]
	s_mov_b64 s[0:1], 0
.LBB2_400:                              ;   in Loop: Header=BB2_84 Depth=1
	s_andn2_b64 vcc, exec, s[0:1]
	s_cbranch_vccnz .LBB2_402
; %bb.401:                              ;   in Loop: Header=BB2_84 Depth=1
	s_add_u32 s8, s36, 0x1000
	s_addc_u32 s9, s37, 0
	s_mov_b64 s[4:5], s[38:39]
	s_mov_b64 s[10:11], s[34:35]
	s_mov_b32 s12, s45
	s_mov_b32 s13, s44
	;; [unrolled: 1-line block ×3, first 2 shown]
	v_mov_b32_e32 v31, v40
	s_getpc_b64 s[0:1]
	s_add_u32 s0, s0, _Z47ncclDevFunc_AllReduce_RING_SIMPLE_Sum_u64_0_0_4v@rel32@lo+4
	s_addc_u32 s1, s1, _Z47ncclDevFunc_AllReduce_RING_SIMPLE_Sum_u64_0_0_4v@rel32@hi+12
	s_swappc_b64 s[30:31], s[0:1]
.LBB2_402:                              ;   in Loop: Header=BB2_84 Depth=1
	s_mov_b64 s[0:1], 0
.LBB2_403:                              ;   in Loop: Header=BB2_84 Depth=1
	s_andn2_b64 vcc, exec, s[0:1]
	s_cbranch_vccnz .LBB2_405
; %bb.404:                              ;   in Loop: Header=BB2_84 Depth=1
	s_add_u32 s8, s36, 0x1000
	s_addc_u32 s9, s37, 0
	s_mov_b64 s[4:5], s[38:39]
	s_mov_b64 s[10:11], s[34:35]
	s_mov_b32 s12, s45
	s_mov_b32 s13, s44
	;; [unrolled: 1-line block ×3, first 2 shown]
	v_mov_b32_e32 v31, v40
	s_getpc_b64 s[0:1]
	s_add_u32 s0, s0, _Z47ncclDevFunc_AllReduce_RING_SIMPLE_Sum_u32_1_0_4v@rel32@lo+4
	s_addc_u32 s1, s1, _Z47ncclDevFunc_AllReduce_RING_SIMPLE_Sum_u32_1_0_4v@rel32@hi+12
	s_swappc_b64 s[30:31], s[0:1]
.LBB2_405:                              ;   in Loop: Header=BB2_84 Depth=1
	s_mov_b64 s[0:1], 0
.LBB2_406:                              ;   in Loop: Header=BB2_84 Depth=1
	s_andn2_b64 vcc, exec, s[0:1]
	s_cbranch_vccnz .LBB2_422
; %bb.407:                              ;   in Loop: Header=BB2_84 Depth=1
	s_cmpk_gt_u32 s55, 0x5a
	s_mov_b64 s[0:1], -1
	s_cbranch_scc0 .LBB2_417
; %bb.408:                              ;   in Loop: Header=BB2_84 Depth=1
	v_cmp_lt_i16_e32 vcc, s55, v78
	s_cbranch_vccnz .LBB2_414
; %bb.409:                              ;   in Loop: Header=BB2_84 Depth=1
	v_cmp_ne_u16_e32 vcc, s55, v78
	s_cbranch_vccz .LBB2_411
; %bb.410:                              ;   in Loop: Header=BB2_84 Depth=1
	s_add_u32 s8, s36, 0x1000
	s_addc_u32 s9, s37, 0
	s_mov_b64 s[4:5], s[38:39]
	s_mov_b64 s[10:11], s[34:35]
	s_mov_b32 s12, s45
	s_mov_b32 s13, s44
	;; [unrolled: 1-line block ×3, first 2 shown]
	v_mov_b32_e32 v31, v40
	s_getpc_b64 s[0:1]
	s_add_u32 s0, s0, _Z47ncclDevFunc_AllReduce_RING_SIMPLE_Sum_u32_0_0_4v@rel32@lo+4
	s_addc_u32 s1, s1, _Z47ncclDevFunc_AllReduce_RING_SIMPLE_Sum_u32_0_0_4v@rel32@hi+12
	s_swappc_b64 s[30:31], s[0:1]
	s_mov_b64 s[0:1], 0
.LBB2_411:                              ;   in Loop: Header=BB2_84 Depth=1
	s_andn2_b64 vcc, exec, s[0:1]
	s_cbranch_vccnz .LBB2_413
; %bb.412:                              ;   in Loop: Header=BB2_84 Depth=1
	s_add_u32 s8, s36, 0x1000
	s_addc_u32 s9, s37, 0
	s_mov_b64 s[4:5], s[38:39]
	s_mov_b64 s[10:11], s[34:35]
	s_mov_b32 s12, s45
	s_mov_b32 s13, s44
	;; [unrolled: 1-line block ×3, first 2 shown]
	v_mov_b32_e32 v31, v40
	s_getpc_b64 s[0:1]
	s_add_u32 s0, s0, _Z46ncclDevFunc_AllReduce_RING_SIMPLE_Sum_u8_1_0_4v@rel32@lo+4
	s_addc_u32 s1, s1, _Z46ncclDevFunc_AllReduce_RING_SIMPLE_Sum_u8_1_0_4v@rel32@hi+12
	s_swappc_b64 s[30:31], s[0:1]
.LBB2_413:                              ;   in Loop: Header=BB2_84 Depth=1
	s_mov_b64 s[0:1], 0
.LBB2_414:                              ;   in Loop: Header=BB2_84 Depth=1
	s_andn2_b64 vcc, exec, s[0:1]
	s_cbranch_vccnz .LBB2_416
; %bb.415:                              ;   in Loop: Header=BB2_84 Depth=1
	s_add_u32 s8, s36, 0x1000
	s_addc_u32 s9, s37, 0
	s_mov_b64 s[4:5], s[38:39]
	s_mov_b64 s[10:11], s[34:35]
	s_mov_b32 s12, s45
	s_mov_b32 s13, s44
	;; [unrolled: 1-line block ×3, first 2 shown]
	v_mov_b32_e32 v31, v40
	s_getpc_b64 s[0:1]
	s_add_u32 s0, s0, _Z46ncclDevFunc_AllReduce_RING_SIMPLE_Sum_u8_0_0_4v@rel32@lo+4
	s_addc_u32 s1, s1, _Z46ncclDevFunc_AllReduce_RING_SIMPLE_Sum_u8_0_0_4v@rel32@hi+12
	s_swappc_b64 s[30:31], s[0:1]
.LBB2_416:                              ;   in Loop: Header=BB2_84 Depth=1
	s_mov_b64 s[0:1], 0
.LBB2_417:                              ;   in Loop: Header=BB2_84 Depth=1
	s_and_b64 vcc, exec, s[0:1]
	s_cbranch_vccz .LBB2_422
; %bb.418:                              ;   in Loop: Header=BB2_84 Depth=1
	s_cmpk_eq_i32 s55, 0x5a
	s_mov_b64 s[0:1], -1
	s_cbranch_scc1 .LBB2_420
; %bb.419:                              ;   in Loop: Header=BB2_84 Depth=1
	s_add_u32 s8, s36, 0x1000
	s_addc_u32 s9, s37, 0
	s_mov_b64 s[4:5], s[38:39]
	s_mov_b64 s[10:11], s[34:35]
	s_mov_b32 s12, s45
	s_mov_b32 s13, s44
	;; [unrolled: 1-line block ×3, first 2 shown]
	v_mov_b32_e32 v31, v40
	s_getpc_b64 s[0:1]
	s_add_u32 s0, s0, _Z54ncclDevFunc_ReduceScatter_RING_LL_SumPostDiv_u32_0_0_4v@rel32@lo+4
	s_addc_u32 s1, s1, _Z54ncclDevFunc_ReduceScatter_RING_LL_SumPostDiv_u32_0_0_4v@rel32@hi+12
	s_swappc_b64 s[30:31], s[0:1]
	s_mov_b64 s[0:1], 0
.LBB2_420:                              ;   in Loop: Header=BB2_84 Depth=1
	s_andn2_b64 vcc, exec, s[0:1]
	s_cbranch_vccnz .LBB2_422
; %bb.421:                              ;   in Loop: Header=BB2_84 Depth=1
	s_add_u32 s8, s36, 0x1000
	s_addc_u32 s9, s37, 0
	s_mov_b64 s[4:5], s[38:39]
	s_mov_b64 s[10:11], s[34:35]
	s_mov_b32 s12, s45
	s_mov_b32 s13, s44
	;; [unrolled: 1-line block ×3, first 2 shown]
	v_mov_b32_e32 v31, v40
	s_getpc_b64 s[0:1]
	s_add_u32 s0, s0, _Z54ncclDevFunc_ReduceScatter_RING_LL_SumPostDiv_u64_0_0_4v@rel32@lo+4
	s_addc_u32 s1, s1, _Z54ncclDevFunc_ReduceScatter_RING_LL_SumPostDiv_u64_0_0_4v@rel32@hi+12
	s_swappc_b64 s[30:31], s[0:1]
.LBB2_422:                              ;   in Loop: Header=BB2_84 Depth=1
	s_mov_b64 s[0:1], 0
.LBB2_423:                              ;   in Loop: Header=BB2_84 Depth=1
	s_andn2_b64 vcc, exec, s[0:1]
	s_cbranch_vccnz .LBB2_734
; %bb.424:                              ;   in Loop: Header=BB2_84 Depth=1
	s_cmp_gt_u32 s55, 43
	s_mov_b64 s[0:1], -1
	s_cbranch_scc0 .LBB2_579
; %bb.425:                              ;   in Loop: Header=BB2_84 Depth=1
	s_cmpk_gt_u32 s55, 0x41
	s_cbranch_scc0 .LBB2_508
; %bb.426:                              ;   in Loop: Header=BB2_84 Depth=1
	s_cmpk_gt_u32 s55, 0x4c
	;; [unrolled: 3-line block ×4, first 2 shown]
	s_cbranch_scc0 .LBB2_438
; %bb.429:                              ;   in Loop: Header=BB2_84 Depth=1
	v_cmp_lt_i16_e32 vcc, s55, v79
	s_cbranch_vccnz .LBB2_435
; %bb.430:                              ;   in Loop: Header=BB2_84 Depth=1
	v_cmp_ne_u16_e32 vcc, s55, v79
	s_cbranch_vccz .LBB2_432
; %bb.431:                              ;   in Loop: Header=BB2_84 Depth=1
	s_add_u32 s8, s36, 0x1000
	s_addc_u32 s9, s37, 0
	s_mov_b64 s[4:5], s[38:39]
	s_mov_b64 s[10:11], s[34:35]
	s_mov_b32 s12, s45
	s_mov_b32 s13, s44
	;; [unrolled: 1-line block ×3, first 2 shown]
	v_mov_b32_e32 v31, v40
	s_getpc_b64 s[0:1]
	s_add_u32 s0, s0, _Z53ncclDevFunc_ReduceScatter_RING_LL_SumPostDiv_u8_0_0_4v@rel32@lo+4
	s_addc_u32 s1, s1, _Z53ncclDevFunc_ReduceScatter_RING_LL_SumPostDiv_u8_0_0_4v@rel32@hi+12
	s_swappc_b64 s[30:31], s[0:1]
	s_mov_b64 s[0:1], 0
.LBB2_432:                              ;   in Loop: Header=BB2_84 Depth=1
	s_andn2_b64 vcc, exec, s[0:1]
	s_cbranch_vccnz .LBB2_434
; %bb.433:                              ;   in Loop: Header=BB2_84 Depth=1
	s_add_u32 s8, s36, 0x1000
	s_addc_u32 s9, s37, 0
	s_mov_b64 s[4:5], s[38:39]
	s_mov_b64 s[10:11], s[34:35]
	s_mov_b32 s12, s45
	s_mov_b32 s13, s44
	;; [unrolled: 1-line block ×3, first 2 shown]
	v_mov_b32_e32 v31, v40
	s_getpc_b64 s[0:1]
	s_add_u32 s0, s0, _Z56ncclDevFunc_ReduceScatter_RING_LL_PreMulSum_f8e5m2_0_0_4v@rel32@lo+4
	s_addc_u32 s1, s1, _Z56ncclDevFunc_ReduceScatter_RING_LL_PreMulSum_f8e5m2_0_0_4v@rel32@hi+12
	s_swappc_b64 s[30:31], s[0:1]
.LBB2_434:                              ;   in Loop: Header=BB2_84 Depth=1
	s_mov_b64 s[0:1], 0
.LBB2_435:                              ;   in Loop: Header=BB2_84 Depth=1
	s_andn2_b64 vcc, exec, s[0:1]
	s_cbranch_vccnz .LBB2_437
; %bb.436:                              ;   in Loop: Header=BB2_84 Depth=1
	s_add_u32 s8, s36, 0x1000
	s_addc_u32 s9, s37, 0
	s_mov_b64 s[4:5], s[38:39]
	s_mov_b64 s[10:11], s[34:35]
	s_mov_b32 s12, s45
	s_mov_b32 s13, s44
	;; [unrolled: 1-line block ×3, first 2 shown]
	v_mov_b32_e32 v31, v40
	s_getpc_b64 s[0:1]
	s_add_u32 s0, s0, _Z56ncclDevFunc_ReduceScatter_RING_LL_PreMulSum_f8e4m3_0_0_4v@rel32@lo+4
	s_addc_u32 s1, s1, _Z56ncclDevFunc_ReduceScatter_RING_LL_PreMulSum_f8e4m3_0_0_4v@rel32@hi+12
	s_swappc_b64 s[30:31], s[0:1]
.LBB2_437:                              ;   in Loop: Header=BB2_84 Depth=1
	s_mov_b64 s[0:1], 0
.LBB2_438:                              ;   in Loop: Header=BB2_84 Depth=1
	s_and_b64 vcc, exec, s[0:1]
	s_cbranch_vccz .LBB2_447
; %bb.439:                              ;   in Loop: Header=BB2_84 Depth=1
	v_cmp_lt_i16_e32 vcc, s55, v88
	s_mov_b64 s[0:1], -1
	s_cbranch_vccnz .LBB2_445
; %bb.440:                              ;   in Loop: Header=BB2_84 Depth=1
	v_cmp_ne_u16_e32 vcc, s55, v88
	s_cbranch_vccz .LBB2_442
; %bb.441:                              ;   in Loop: Header=BB2_84 Depth=1
	s_add_u32 s8, s36, 0x1000
	s_addc_u32 s9, s37, 0
	s_mov_b64 s[4:5], s[38:39]
	s_mov_b64 s[10:11], s[34:35]
	s_mov_b32 s12, s45
	s_mov_b32 s13, s44
	;; [unrolled: 1-line block ×3, first 2 shown]
	v_mov_b32_e32 v31, v40
	s_getpc_b64 s[0:1]
	s_add_u32 s0, s0, _Z54ncclDevFunc_ReduceScatter_RING_LL_PreMulSum_bf16_0_0_4v@rel32@lo+4
	s_addc_u32 s1, s1, _Z54ncclDevFunc_ReduceScatter_RING_LL_PreMulSum_bf16_0_0_4v@rel32@hi+12
	s_swappc_b64 s[30:31], s[0:1]
	s_mov_b64 s[0:1], 0
.LBB2_442:                              ;   in Loop: Header=BB2_84 Depth=1
	s_andn2_b64 vcc, exec, s[0:1]
	s_cbranch_vccnz .LBB2_444
; %bb.443:                              ;   in Loop: Header=BB2_84 Depth=1
	s_add_u32 s8, s36, 0x1000
	s_addc_u32 s9, s37, 0
	s_mov_b64 s[4:5], s[38:39]
	s_mov_b64 s[10:11], s[34:35]
	s_mov_b32 s12, s45
	s_mov_b32 s13, s44
	;; [unrolled: 1-line block ×3, first 2 shown]
	v_mov_b32_e32 v31, v40
	s_getpc_b64 s[0:1]
	s_add_u32 s0, s0, _Z53ncclDevFunc_ReduceScatter_RING_LL_PreMulSum_f64_0_0_4v@rel32@lo+4
	s_addc_u32 s1, s1, _Z53ncclDevFunc_ReduceScatter_RING_LL_PreMulSum_f64_0_0_4v@rel32@hi+12
	s_swappc_b64 s[30:31], s[0:1]
.LBB2_444:                              ;   in Loop: Header=BB2_84 Depth=1
	s_mov_b64 s[0:1], 0
.LBB2_445:                              ;   in Loop: Header=BB2_84 Depth=1
	s_andn2_b64 vcc, exec, s[0:1]
	s_cbranch_vccnz .LBB2_447
; %bb.446:                              ;   in Loop: Header=BB2_84 Depth=1
	s_add_u32 s8, s36, 0x1000
	s_addc_u32 s9, s37, 0
	s_mov_b64 s[4:5], s[38:39]
	s_mov_b64 s[10:11], s[34:35]
	s_mov_b32 s12, s45
	s_mov_b32 s13, s44
	s_mov_b32 s14, s33
	v_mov_b32_e32 v31, v40
	s_getpc_b64 s[0:1]
	s_add_u32 s0, s0, _Z53ncclDevFunc_ReduceScatter_RING_LL_PreMulSum_f32_0_0_4v@rel32@lo+4
	s_addc_u32 s1, s1, _Z53ncclDevFunc_ReduceScatter_RING_LL_PreMulSum_f32_0_0_4v@rel32@hi+12
	s_swappc_b64 s[30:31], s[0:1]
.LBB2_447:                              ;   in Loop: Header=BB2_84 Depth=1
	s_mov_b64 s[0:1], 0
.LBB2_448:                              ;   in Loop: Header=BB2_84 Depth=1
	s_andn2_b64 vcc, exec, s[0:1]
	s_cbranch_vccnz .LBB2_468
; %bb.449:                              ;   in Loop: Header=BB2_84 Depth=1
	s_cmpk_gt_u32 s55, 0x4f
	s_mov_b64 s[0:1], -1
	s_cbranch_scc0 .LBB2_459
; %bb.450:                              ;   in Loop: Header=BB2_84 Depth=1
	v_cmp_lt_i16_e32 vcc, s55, v89
	s_cbranch_vccnz .LBB2_456
; %bb.451:                              ;   in Loop: Header=BB2_84 Depth=1
	v_cmp_ne_u16_e32 vcc, s55, v89
	s_cbranch_vccz .LBB2_453
; %bb.452:                              ;   in Loop: Header=BB2_84 Depth=1
	s_add_u32 s8, s36, 0x1000
	s_addc_u32 s9, s37, 0
	s_mov_b64 s[4:5], s[38:39]
	s_mov_b64 s[10:11], s[34:35]
	s_mov_b32 s12, s45
	s_mov_b32 s13, s44
	;; [unrolled: 1-line block ×3, first 2 shown]
	v_mov_b32_e32 v31, v40
	s_getpc_b64 s[0:1]
	s_add_u32 s0, s0, _Z53ncclDevFunc_ReduceScatter_RING_LL_PreMulSum_f16_0_0_4v@rel32@lo+4
	s_addc_u32 s1, s1, _Z53ncclDevFunc_ReduceScatter_RING_LL_PreMulSum_f16_0_0_4v@rel32@hi+12
	s_swappc_b64 s[30:31], s[0:1]
	s_mov_b64 s[0:1], 0
.LBB2_453:                              ;   in Loop: Header=BB2_84 Depth=1
	s_andn2_b64 vcc, exec, s[0:1]
	s_cbranch_vccnz .LBB2_455
; %bb.454:                              ;   in Loop: Header=BB2_84 Depth=1
	s_add_u32 s8, s36, 0x1000
	s_addc_u32 s9, s37, 0
	s_mov_b64 s[4:5], s[38:39]
	s_mov_b64 s[10:11], s[34:35]
	s_mov_b32 s12, s45
	s_mov_b32 s13, s44
	s_mov_b32 s14, s33
	v_mov_b32_e32 v31, v40
	s_getpc_b64 s[0:1]
	s_add_u32 s0, s0, _Z53ncclDevFunc_ReduceScatter_RING_LL_PreMulSum_u64_0_0_4v@rel32@lo+4
	s_addc_u32 s1, s1, _Z53ncclDevFunc_ReduceScatter_RING_LL_PreMulSum_u64_0_0_4v@rel32@hi+12
	s_swappc_b64 s[30:31], s[0:1]
.LBB2_455:                              ;   in Loop: Header=BB2_84 Depth=1
	s_mov_b64 s[0:1], 0
.LBB2_456:                              ;   in Loop: Header=BB2_84 Depth=1
	s_andn2_b64 vcc, exec, s[0:1]
	s_cbranch_vccnz .LBB2_458
; %bb.457:                              ;   in Loop: Header=BB2_84 Depth=1
	s_add_u32 s8, s36, 0x1000
	s_addc_u32 s9, s37, 0
	s_mov_b64 s[4:5], s[38:39]
	s_mov_b64 s[10:11], s[34:35]
	s_mov_b32 s12, s45
	s_mov_b32 s13, s44
	;; [unrolled: 1-line block ×3, first 2 shown]
	v_mov_b32_e32 v31, v40
	s_getpc_b64 s[0:1]
	s_add_u32 s0, s0, _Z53ncclDevFunc_ReduceScatter_RING_LL_PreMulSum_u32_0_0_4v@rel32@lo+4
	s_addc_u32 s1, s1, _Z53ncclDevFunc_ReduceScatter_RING_LL_PreMulSum_u32_0_0_4v@rel32@hi+12
	s_swappc_b64 s[30:31], s[0:1]
.LBB2_458:                              ;   in Loop: Header=BB2_84 Depth=1
	s_mov_b64 s[0:1], 0
.LBB2_459:                              ;   in Loop: Header=BB2_84 Depth=1
	s_and_b64 vcc, exec, s[0:1]
	s_cbranch_vccz .LBB2_468
; %bb.460:                              ;   in Loop: Header=BB2_84 Depth=1
	v_cmp_lt_i16_e32 vcc, s55, v90
	s_mov_b64 s[0:1], -1
	s_cbranch_vccnz .LBB2_466
; %bb.461:                              ;   in Loop: Header=BB2_84 Depth=1
	v_cmp_ne_u16_e32 vcc, s55, v90
	s_cbranch_vccz .LBB2_463
; %bb.462:                              ;   in Loop: Header=BB2_84 Depth=1
	s_add_u32 s8, s36, 0x1000
	s_addc_u32 s9, s37, 0
	s_mov_b64 s[4:5], s[38:39]
	s_mov_b64 s[10:11], s[34:35]
	s_mov_b32 s12, s45
	s_mov_b32 s13, s44
	;; [unrolled: 1-line block ×3, first 2 shown]
	v_mov_b32_e32 v31, v40
	s_getpc_b64 s[0:1]
	s_add_u32 s0, s0, _Z52ncclDevFunc_ReduceScatter_RING_LL_PreMulSum_u8_0_0_4v@rel32@lo+4
	s_addc_u32 s1, s1, _Z52ncclDevFunc_ReduceScatter_RING_LL_PreMulSum_u8_0_0_4v@rel32@hi+12
	s_swappc_b64 s[30:31], s[0:1]
	s_mov_b64 s[0:1], 0
.LBB2_463:                              ;   in Loop: Header=BB2_84 Depth=1
	s_andn2_b64 vcc, exec, s[0:1]
	s_cbranch_vccnz .LBB2_465
; %bb.464:                              ;   in Loop: Header=BB2_84 Depth=1
	s_add_u32 s8, s36, 0x1000
	s_addc_u32 s9, s37, 0
	s_mov_b64 s[4:5], s[38:39]
	s_mov_b64 s[10:11], s[34:35]
	s_mov_b32 s12, s45
	s_mov_b32 s13, s44
	;; [unrolled: 1-line block ×3, first 2 shown]
	v_mov_b32_e32 v31, v40
	s_getpc_b64 s[0:1]
	s_add_u32 s0, s0, _Z53ncclDevFunc_ReduceScatter_RING_LL_MinMax_f8e5m2_0_0_4v@rel32@lo+4
	s_addc_u32 s1, s1, _Z53ncclDevFunc_ReduceScatter_RING_LL_MinMax_f8e5m2_0_0_4v@rel32@hi+12
	s_swappc_b64 s[30:31], s[0:1]
.LBB2_465:                              ;   in Loop: Header=BB2_84 Depth=1
	s_mov_b64 s[0:1], 0
.LBB2_466:                              ;   in Loop: Header=BB2_84 Depth=1
	s_andn2_b64 vcc, exec, s[0:1]
	s_cbranch_vccnz .LBB2_468
; %bb.467:                              ;   in Loop: Header=BB2_84 Depth=1
	s_add_u32 s8, s36, 0x1000
	s_addc_u32 s9, s37, 0
	s_mov_b64 s[4:5], s[38:39]
	s_mov_b64 s[10:11], s[34:35]
	s_mov_b32 s12, s45
	s_mov_b32 s13, s44
	;; [unrolled: 1-line block ×3, first 2 shown]
	v_mov_b32_e32 v31, v40
	s_getpc_b64 s[0:1]
	s_add_u32 s0, s0, _Z53ncclDevFunc_ReduceScatter_RING_LL_MinMax_f8e4m3_0_0_4v@rel32@lo+4
	s_addc_u32 s1, s1, _Z53ncclDevFunc_ReduceScatter_RING_LL_MinMax_f8e4m3_0_0_4v@rel32@hi+12
	s_swappc_b64 s[30:31], s[0:1]
.LBB2_468:                              ;   in Loop: Header=BB2_84 Depth=1
	s_mov_b64 s[0:1], 0
.LBB2_469:                              ;   in Loop: Header=BB2_84 Depth=1
	s_andn2_b64 vcc, exec, s[0:1]
	s_cbranch_vccnz .LBB2_507
; %bb.470:                              ;   in Loop: Header=BB2_84 Depth=1
	s_cmpk_gt_u32 s55, 0x46
	s_mov_b64 s[0:1], -1
	s_cbranch_scc0 .LBB2_491
; %bb.471:                              ;   in Loop: Header=BB2_84 Depth=1
	s_cmpk_gt_u32 s55, 0x49
	s_cbranch_scc0 .LBB2_481
; %bb.472:                              ;   in Loop: Header=BB2_84 Depth=1
	v_cmp_lt_i16_e32 vcc, s55, v91
	s_cbranch_vccnz .LBB2_478
; %bb.473:                              ;   in Loop: Header=BB2_84 Depth=1
	v_cmp_ne_u16_e32 vcc, s55, v91
	s_cbranch_vccz .LBB2_475
; %bb.474:                              ;   in Loop: Header=BB2_84 Depth=1
	s_add_u32 s8, s36, 0x1000
	s_addc_u32 s9, s37, 0
	s_mov_b64 s[4:5], s[38:39]
	s_mov_b64 s[10:11], s[34:35]
	s_mov_b32 s12, s45
	s_mov_b32 s13, s44
	s_mov_b32 s14, s33
	v_mov_b32_e32 v31, v40
	s_getpc_b64 s[0:1]
	s_add_u32 s0, s0, _Z51ncclDevFunc_ReduceScatter_RING_LL_MinMax_bf16_0_0_4v@rel32@lo+4
	s_addc_u32 s1, s1, _Z51ncclDevFunc_ReduceScatter_RING_LL_MinMax_bf16_0_0_4v@rel32@hi+12
	s_swappc_b64 s[30:31], s[0:1]
	s_mov_b64 s[0:1], 0
.LBB2_475:                              ;   in Loop: Header=BB2_84 Depth=1
	s_andn2_b64 vcc, exec, s[0:1]
	s_cbranch_vccnz .LBB2_477
; %bb.476:                              ;   in Loop: Header=BB2_84 Depth=1
	s_add_u32 s8, s36, 0x1000
	s_addc_u32 s9, s37, 0
	s_mov_b64 s[4:5], s[38:39]
	s_mov_b64 s[10:11], s[34:35]
	s_mov_b32 s12, s45
	s_mov_b32 s13, s44
	;; [unrolled: 1-line block ×3, first 2 shown]
	v_mov_b32_e32 v31, v40
	s_getpc_b64 s[0:1]
	s_add_u32 s0, s0, _Z50ncclDevFunc_ReduceScatter_RING_LL_MinMax_f64_0_0_4v@rel32@lo+4
	s_addc_u32 s1, s1, _Z50ncclDevFunc_ReduceScatter_RING_LL_MinMax_f64_0_0_4v@rel32@hi+12
	s_swappc_b64 s[30:31], s[0:1]
.LBB2_477:                              ;   in Loop: Header=BB2_84 Depth=1
	s_mov_b64 s[0:1], 0
.LBB2_478:                              ;   in Loop: Header=BB2_84 Depth=1
	s_andn2_b64 vcc, exec, s[0:1]
	s_cbranch_vccnz .LBB2_480
; %bb.479:                              ;   in Loop: Header=BB2_84 Depth=1
	s_add_u32 s8, s36, 0x1000
	s_addc_u32 s9, s37, 0
	s_mov_b64 s[4:5], s[38:39]
	s_mov_b64 s[10:11], s[34:35]
	s_mov_b32 s12, s45
	s_mov_b32 s13, s44
	;; [unrolled: 1-line block ×3, first 2 shown]
	v_mov_b32_e32 v31, v40
	s_getpc_b64 s[0:1]
	s_add_u32 s0, s0, _Z50ncclDevFunc_ReduceScatter_RING_LL_MinMax_f32_0_0_4v@rel32@lo+4
	s_addc_u32 s1, s1, _Z50ncclDevFunc_ReduceScatter_RING_LL_MinMax_f32_0_0_4v@rel32@hi+12
	s_swappc_b64 s[30:31], s[0:1]
.LBB2_480:                              ;   in Loop: Header=BB2_84 Depth=1
	s_mov_b64 s[0:1], 0
.LBB2_481:                              ;   in Loop: Header=BB2_84 Depth=1
	s_and_b64 vcc, exec, s[0:1]
	s_cbranch_vccz .LBB2_490
; %bb.482:                              ;   in Loop: Header=BB2_84 Depth=1
	v_cmp_lt_i16_e32 vcc, s55, v92
	s_mov_b64 s[0:1], -1
	s_cbranch_vccnz .LBB2_488
; %bb.483:                              ;   in Loop: Header=BB2_84 Depth=1
	v_cmp_ne_u16_e32 vcc, s55, v92
	s_cbranch_vccz .LBB2_485
; %bb.484:                              ;   in Loop: Header=BB2_84 Depth=1
	s_add_u32 s8, s36, 0x1000
	s_addc_u32 s9, s37, 0
	s_mov_b64 s[4:5], s[38:39]
	s_mov_b64 s[10:11], s[34:35]
	s_mov_b32 s12, s45
	s_mov_b32 s13, s44
	;; [unrolled: 1-line block ×3, first 2 shown]
	v_mov_b32_e32 v31, v40
	s_getpc_b64 s[0:1]
	s_add_u32 s0, s0, _Z50ncclDevFunc_ReduceScatter_RING_LL_MinMax_f16_0_0_4v@rel32@lo+4
	s_addc_u32 s1, s1, _Z50ncclDevFunc_ReduceScatter_RING_LL_MinMax_f16_0_0_4v@rel32@hi+12
	s_swappc_b64 s[30:31], s[0:1]
	s_mov_b64 s[0:1], 0
.LBB2_485:                              ;   in Loop: Header=BB2_84 Depth=1
	s_andn2_b64 vcc, exec, s[0:1]
	s_cbranch_vccnz .LBB2_487
; %bb.486:                              ;   in Loop: Header=BB2_84 Depth=1
	s_add_u32 s8, s36, 0x1000
	s_addc_u32 s9, s37, 0
	s_mov_b64 s[4:5], s[38:39]
	s_mov_b64 s[10:11], s[34:35]
	s_mov_b32 s12, s45
	s_mov_b32 s13, s44
	;; [unrolled: 1-line block ×3, first 2 shown]
	v_mov_b32_e32 v31, v40
	s_getpc_b64 s[0:1]
	s_add_u32 s0, s0, _Z50ncclDevFunc_ReduceScatter_RING_LL_MinMax_u64_0_0_4v@rel32@lo+4
	s_addc_u32 s1, s1, _Z50ncclDevFunc_ReduceScatter_RING_LL_MinMax_u64_0_0_4v@rel32@hi+12
	s_swappc_b64 s[30:31], s[0:1]
.LBB2_487:                              ;   in Loop: Header=BB2_84 Depth=1
	s_mov_b64 s[0:1], 0
.LBB2_488:                              ;   in Loop: Header=BB2_84 Depth=1
	s_andn2_b64 vcc, exec, s[0:1]
	s_cbranch_vccnz .LBB2_490
; %bb.489:                              ;   in Loop: Header=BB2_84 Depth=1
	s_add_u32 s8, s36, 0x1000
	s_addc_u32 s9, s37, 0
	s_mov_b64 s[4:5], s[38:39]
	s_mov_b64 s[10:11], s[34:35]
	s_mov_b32 s12, s45
	s_mov_b32 s13, s44
	;; [unrolled: 1-line block ×3, first 2 shown]
	v_mov_b32_e32 v31, v40
	s_getpc_b64 s[0:1]
	s_add_u32 s0, s0, _Z50ncclDevFunc_ReduceScatter_RING_LL_MinMax_u32_0_0_4v@rel32@lo+4
	s_addc_u32 s1, s1, _Z50ncclDevFunc_ReduceScatter_RING_LL_MinMax_u32_0_0_4v@rel32@hi+12
	s_swappc_b64 s[30:31], s[0:1]
.LBB2_490:                              ;   in Loop: Header=BB2_84 Depth=1
	s_mov_b64 s[0:1], 0
.LBB2_491:                              ;   in Loop: Header=BB2_84 Depth=1
	s_andn2_b64 vcc, exec, s[0:1]
	s_cbranch_vccnz .LBB2_507
; %bb.492:                              ;   in Loop: Header=BB2_84 Depth=1
	s_cmpk_gt_u32 s55, 0x43
	s_mov_b64 s[0:1], -1
	s_cbranch_scc0 .LBB2_502
; %bb.493:                              ;   in Loop: Header=BB2_84 Depth=1
	v_cmp_lt_i16_e32 vcc, s55, v93
	s_cbranch_vccnz .LBB2_499
; %bb.494:                              ;   in Loop: Header=BB2_84 Depth=1
	v_cmp_ne_u16_e32 vcc, s55, v93
	s_cbranch_vccz .LBB2_496
; %bb.495:                              ;   in Loop: Header=BB2_84 Depth=1
	s_add_u32 s8, s36, 0x1000
	s_addc_u32 s9, s37, 0
	s_mov_b64 s[4:5], s[38:39]
	s_mov_b64 s[10:11], s[34:35]
	s_mov_b32 s12, s45
	s_mov_b32 s13, s44
	;; [unrolled: 1-line block ×3, first 2 shown]
	v_mov_b32_e32 v31, v40
	s_getpc_b64 s[0:1]
	s_add_u32 s0, s0, _Z49ncclDevFunc_ReduceScatter_RING_LL_MinMax_u8_0_0_4v@rel32@lo+4
	s_addc_u32 s1, s1, _Z49ncclDevFunc_ReduceScatter_RING_LL_MinMax_u8_0_0_4v@rel32@hi+12
	s_swappc_b64 s[30:31], s[0:1]
	s_mov_b64 s[0:1], 0
.LBB2_496:                              ;   in Loop: Header=BB2_84 Depth=1
	s_andn2_b64 vcc, exec, s[0:1]
	s_cbranch_vccnz .LBB2_498
; %bb.497:                              ;   in Loop: Header=BB2_84 Depth=1
	s_add_u32 s8, s36, 0x1000
	s_addc_u32 s9, s37, 0
	s_mov_b64 s[4:5], s[38:39]
	s_mov_b64 s[10:11], s[34:35]
	s_mov_b32 s12, s45
	s_mov_b32 s13, s44
	;; [unrolled: 1-line block ×3, first 2 shown]
	v_mov_b32_e32 v31, v40
	s_getpc_b64 s[0:1]
	s_add_u32 s0, s0, _Z51ncclDevFunc_ReduceScatter_RING_LL_Prod_f8e5m2_0_0_4v@rel32@lo+4
	s_addc_u32 s1, s1, _Z51ncclDevFunc_ReduceScatter_RING_LL_Prod_f8e5m2_0_0_4v@rel32@hi+12
	s_swappc_b64 s[30:31], s[0:1]
.LBB2_498:                              ;   in Loop: Header=BB2_84 Depth=1
	s_mov_b64 s[0:1], 0
.LBB2_499:                              ;   in Loop: Header=BB2_84 Depth=1
	s_andn2_b64 vcc, exec, s[0:1]
	s_cbranch_vccnz .LBB2_501
; %bb.500:                              ;   in Loop: Header=BB2_84 Depth=1
	s_add_u32 s8, s36, 0x1000
	s_addc_u32 s9, s37, 0
	s_mov_b64 s[4:5], s[38:39]
	s_mov_b64 s[10:11], s[34:35]
	s_mov_b32 s12, s45
	s_mov_b32 s13, s44
	;; [unrolled: 1-line block ×3, first 2 shown]
	v_mov_b32_e32 v31, v40
	s_getpc_b64 s[0:1]
	s_add_u32 s0, s0, _Z51ncclDevFunc_ReduceScatter_RING_LL_Prod_f8e4m3_0_0_4v@rel32@lo+4
	s_addc_u32 s1, s1, _Z51ncclDevFunc_ReduceScatter_RING_LL_Prod_f8e4m3_0_0_4v@rel32@hi+12
	s_swappc_b64 s[30:31], s[0:1]
.LBB2_501:                              ;   in Loop: Header=BB2_84 Depth=1
	s_mov_b64 s[0:1], 0
.LBB2_502:                              ;   in Loop: Header=BB2_84 Depth=1
	s_and_b64 vcc, exec, s[0:1]
	s_cbranch_vccz .LBB2_507
; %bb.503:                              ;   in Loop: Header=BB2_84 Depth=1
	s_cmpk_eq_i32 s55, 0x43
	s_mov_b64 s[0:1], -1
	s_cbranch_scc1 .LBB2_505
; %bb.504:                              ;   in Loop: Header=BB2_84 Depth=1
	s_add_u32 s8, s36, 0x1000
	s_addc_u32 s9, s37, 0
	s_mov_b64 s[4:5], s[38:39]
	s_mov_b64 s[10:11], s[34:35]
	s_mov_b32 s12, s45
	s_mov_b32 s13, s44
	s_mov_b32 s14, s33
	v_mov_b32_e32 v31, v40
	s_getpc_b64 s[0:1]
	s_add_u32 s0, s0, _Z48ncclDevFunc_ReduceScatter_RING_LL_Prod_f64_0_0_4v@rel32@lo+4
	s_addc_u32 s1, s1, _Z48ncclDevFunc_ReduceScatter_RING_LL_Prod_f64_0_0_4v@rel32@hi+12
	s_swappc_b64 s[30:31], s[0:1]
	s_mov_b64 s[0:1], 0
.LBB2_505:                              ;   in Loop: Header=BB2_84 Depth=1
	s_andn2_b64 vcc, exec, s[0:1]
	s_cbranch_vccnz .LBB2_507
; %bb.506:                              ;   in Loop: Header=BB2_84 Depth=1
	s_add_u32 s8, s36, 0x1000
	s_addc_u32 s9, s37, 0
	s_mov_b64 s[4:5], s[38:39]
	s_mov_b64 s[10:11], s[34:35]
	s_mov_b32 s12, s45
	s_mov_b32 s13, s44
	;; [unrolled: 1-line block ×3, first 2 shown]
	v_mov_b32_e32 v31, v40
	s_getpc_b64 s[0:1]
	s_add_u32 s0, s0, _Z49ncclDevFunc_ReduceScatter_RING_LL_Prod_bf16_0_0_4v@rel32@lo+4
	s_addc_u32 s1, s1, _Z49ncclDevFunc_ReduceScatter_RING_LL_Prod_bf16_0_0_4v@rel32@hi+12
	s_swappc_b64 s[30:31], s[0:1]
.LBB2_507:                              ;   in Loop: Header=BB2_84 Depth=1
	s_mov_b64 s[0:1], 0
.LBB2_508:                              ;   in Loop: Header=BB2_84 Depth=1
	s_andn2_b64 vcc, exec, s[0:1]
	s_cbranch_vccnz .LBB2_578
; %bb.509:                              ;   in Loop: Header=BB2_84 Depth=1
	s_cmp_gt_u32 s55, 54
	s_mov_b64 s[0:1], -1
	s_cbranch_scc0 .LBB2_548
; %bb.510:                              ;   in Loop: Header=BB2_84 Depth=1
	s_cmp_gt_u32 s55, 59
	s_cbranch_scc0 .LBB2_531
; %bb.511:                              ;   in Loop: Header=BB2_84 Depth=1
	s_cmp_gt_u32 s55, 62
	s_cbranch_scc0 .LBB2_521
; %bb.512:                              ;   in Loop: Header=BB2_84 Depth=1
	v_cmp_lt_i16_e64 s[2:3], s55, 64
	s_and_b64 vcc, exec, s[2:3]
	s_cbranch_vccnz .LBB2_518
; %bb.513:                              ;   in Loop: Header=BB2_84 Depth=1
	v_cmp_ne_u16_e64 s[2:3], s55, 64
	s_and_b64 vcc, exec, s[2:3]
	s_cbranch_vccz .LBB2_515
; %bb.514:                              ;   in Loop: Header=BB2_84 Depth=1
	s_add_u32 s8, s36, 0x1000
	s_addc_u32 s9, s37, 0
	s_mov_b64 s[4:5], s[38:39]
	s_mov_b64 s[10:11], s[34:35]
	s_mov_b32 s12, s45
	s_mov_b32 s13, s44
	s_mov_b32 s14, s33
	v_mov_b32_e32 v31, v40
	s_getpc_b64 s[0:1]
	s_add_u32 s0, s0, _Z48ncclDevFunc_ReduceScatter_RING_LL_Prod_f32_0_0_4v@rel32@lo+4
	s_addc_u32 s1, s1, _Z48ncclDevFunc_ReduceScatter_RING_LL_Prod_f32_0_0_4v@rel32@hi+12
	s_swappc_b64 s[30:31], s[0:1]
	s_mov_b64 s[0:1], 0
.LBB2_515:                              ;   in Loop: Header=BB2_84 Depth=1
	s_andn2_b64 vcc, exec, s[0:1]
	s_cbranch_vccnz .LBB2_517
; %bb.516:                              ;   in Loop: Header=BB2_84 Depth=1
	s_add_u32 s8, s36, 0x1000
	s_addc_u32 s9, s37, 0
	s_mov_b64 s[4:5], s[38:39]
	s_mov_b64 s[10:11], s[34:35]
	s_mov_b32 s12, s45
	s_mov_b32 s13, s44
	;; [unrolled: 1-line block ×3, first 2 shown]
	v_mov_b32_e32 v31, v40
	s_getpc_b64 s[0:1]
	s_add_u32 s0, s0, _Z48ncclDevFunc_ReduceScatter_RING_LL_Prod_f16_0_0_4v@rel32@lo+4
	s_addc_u32 s1, s1, _Z48ncclDevFunc_ReduceScatter_RING_LL_Prod_f16_0_0_4v@rel32@hi+12
	s_swappc_b64 s[30:31], s[0:1]
.LBB2_517:                              ;   in Loop: Header=BB2_84 Depth=1
	s_mov_b64 s[0:1], 0
.LBB2_518:                              ;   in Loop: Header=BB2_84 Depth=1
	s_andn2_b64 vcc, exec, s[0:1]
	s_cbranch_vccnz .LBB2_520
; %bb.519:                              ;   in Loop: Header=BB2_84 Depth=1
	s_add_u32 s8, s36, 0x1000
	s_addc_u32 s9, s37, 0
	s_mov_b64 s[4:5], s[38:39]
	s_mov_b64 s[10:11], s[34:35]
	s_mov_b32 s12, s45
	s_mov_b32 s13, s44
	;; [unrolled: 1-line block ×3, first 2 shown]
	v_mov_b32_e32 v31, v40
	s_getpc_b64 s[0:1]
	s_add_u32 s0, s0, _Z48ncclDevFunc_ReduceScatter_RING_LL_Prod_u64_0_0_4v@rel32@lo+4
	s_addc_u32 s1, s1, _Z48ncclDevFunc_ReduceScatter_RING_LL_Prod_u64_0_0_4v@rel32@hi+12
	s_swappc_b64 s[30:31], s[0:1]
.LBB2_520:                              ;   in Loop: Header=BB2_84 Depth=1
	s_mov_b64 s[0:1], 0
.LBB2_521:                              ;   in Loop: Header=BB2_84 Depth=1
	s_and_b64 vcc, exec, s[0:1]
	s_cbranch_vccz .LBB2_530
; %bb.522:                              ;   in Loop: Header=BB2_84 Depth=1
	v_cmp_lt_i16_e64 s[2:3], s55, 61
	s_mov_b64 s[0:1], -1
	s_and_b64 vcc, exec, s[2:3]
	s_cbranch_vccnz .LBB2_528
; %bb.523:                              ;   in Loop: Header=BB2_84 Depth=1
	v_cmp_ne_u16_e64 s[2:3], s55, 61
	s_and_b64 vcc, exec, s[2:3]
	s_cbranch_vccz .LBB2_525
; %bb.524:                              ;   in Loop: Header=BB2_84 Depth=1
	s_add_u32 s8, s36, 0x1000
	s_addc_u32 s9, s37, 0
	s_mov_b64 s[4:5], s[38:39]
	s_mov_b64 s[10:11], s[34:35]
	s_mov_b32 s12, s45
	s_mov_b32 s13, s44
	;; [unrolled: 1-line block ×3, first 2 shown]
	v_mov_b32_e32 v31, v40
	s_getpc_b64 s[0:1]
	s_add_u32 s0, s0, _Z48ncclDevFunc_ReduceScatter_RING_LL_Prod_u32_0_0_4v@rel32@lo+4
	s_addc_u32 s1, s1, _Z48ncclDevFunc_ReduceScatter_RING_LL_Prod_u32_0_0_4v@rel32@hi+12
	s_swappc_b64 s[30:31], s[0:1]
	s_mov_b64 s[0:1], 0
.LBB2_525:                              ;   in Loop: Header=BB2_84 Depth=1
	s_andn2_b64 vcc, exec, s[0:1]
	s_cbranch_vccnz .LBB2_527
; %bb.526:                              ;   in Loop: Header=BB2_84 Depth=1
	s_add_u32 s8, s36, 0x1000
	s_addc_u32 s9, s37, 0
	s_mov_b64 s[4:5], s[38:39]
	s_mov_b64 s[10:11], s[34:35]
	s_mov_b32 s12, s45
	s_mov_b32 s13, s44
	;; [unrolled: 1-line block ×3, first 2 shown]
	v_mov_b32_e32 v31, v40
	s_getpc_b64 s[0:1]
	s_add_u32 s0, s0, _Z47ncclDevFunc_ReduceScatter_RING_LL_Prod_u8_0_0_4v@rel32@lo+4
	s_addc_u32 s1, s1, _Z47ncclDevFunc_ReduceScatter_RING_LL_Prod_u8_0_0_4v@rel32@hi+12
	s_swappc_b64 s[30:31], s[0:1]
.LBB2_527:                              ;   in Loop: Header=BB2_84 Depth=1
	s_mov_b64 s[0:1], 0
.LBB2_528:                              ;   in Loop: Header=BB2_84 Depth=1
	s_andn2_b64 vcc, exec, s[0:1]
	s_cbranch_vccnz .LBB2_530
; %bb.529:                              ;   in Loop: Header=BB2_84 Depth=1
	s_add_u32 s8, s36, 0x1000
	s_addc_u32 s9, s37, 0
	s_mov_b64 s[4:5], s[38:39]
	s_mov_b64 s[10:11], s[34:35]
	s_mov_b32 s12, s45
	s_mov_b32 s13, s44
	;; [unrolled: 1-line block ×3, first 2 shown]
	v_mov_b32_e32 v31, v40
	s_getpc_b64 s[0:1]
	s_add_u32 s0, s0, _Z50ncclDevFunc_ReduceScatter_RING_LL_Sum_f8e5m2_0_0_4v@rel32@lo+4
	s_addc_u32 s1, s1, _Z50ncclDevFunc_ReduceScatter_RING_LL_Sum_f8e5m2_0_0_4v@rel32@hi+12
	s_swappc_b64 s[30:31], s[0:1]
.LBB2_530:                              ;   in Loop: Header=BB2_84 Depth=1
	s_mov_b64 s[0:1], 0
.LBB2_531:                              ;   in Loop: Header=BB2_84 Depth=1
	s_andn2_b64 vcc, exec, s[0:1]
	s_cbranch_vccnz .LBB2_547
; %bb.532:                              ;   in Loop: Header=BB2_84 Depth=1
	s_cmp_gt_u32 s55, 56
	s_mov_b64 s[0:1], -1
	s_cbranch_scc0 .LBB2_542
; %bb.533:                              ;   in Loop: Header=BB2_84 Depth=1
	v_cmp_lt_i16_e64 s[2:3], s55, 58
	s_and_b64 vcc, exec, s[2:3]
	s_cbranch_vccnz .LBB2_539
; %bb.534:                              ;   in Loop: Header=BB2_84 Depth=1
	v_cmp_ne_u16_e64 s[2:3], s55, 58
	s_and_b64 vcc, exec, s[2:3]
	s_cbranch_vccz .LBB2_536
; %bb.535:                              ;   in Loop: Header=BB2_84 Depth=1
	s_add_u32 s8, s36, 0x1000
	s_addc_u32 s9, s37, 0
	s_mov_b64 s[4:5], s[38:39]
	s_mov_b64 s[10:11], s[34:35]
	s_mov_b32 s12, s45
	s_mov_b32 s13, s44
	;; [unrolled: 1-line block ×3, first 2 shown]
	v_mov_b32_e32 v31, v40
	s_getpc_b64 s[0:1]
	s_add_u32 s0, s0, _Z50ncclDevFunc_ReduceScatter_RING_LL_Sum_f8e4m3_0_0_4v@rel32@lo+4
	s_addc_u32 s1, s1, _Z50ncclDevFunc_ReduceScatter_RING_LL_Sum_f8e4m3_0_0_4v@rel32@hi+12
	s_swappc_b64 s[30:31], s[0:1]
	s_mov_b64 s[0:1], 0
.LBB2_536:                              ;   in Loop: Header=BB2_84 Depth=1
	s_andn2_b64 vcc, exec, s[0:1]
	s_cbranch_vccnz .LBB2_538
; %bb.537:                              ;   in Loop: Header=BB2_84 Depth=1
	s_add_u32 s8, s36, 0x1000
	s_addc_u32 s9, s37, 0
	s_mov_b64 s[4:5], s[38:39]
	s_mov_b64 s[10:11], s[34:35]
	s_mov_b32 s12, s45
	s_mov_b32 s13, s44
	;; [unrolled: 1-line block ×3, first 2 shown]
	v_mov_b32_e32 v31, v40
	s_getpc_b64 s[0:1]
	s_add_u32 s0, s0, _Z48ncclDevFunc_ReduceScatter_RING_LL_Sum_bf16_0_0_4v@rel32@lo+4
	s_addc_u32 s1, s1, _Z48ncclDevFunc_ReduceScatter_RING_LL_Sum_bf16_0_0_4v@rel32@hi+12
	s_swappc_b64 s[30:31], s[0:1]
.LBB2_538:                              ;   in Loop: Header=BB2_84 Depth=1
	s_mov_b64 s[0:1], 0
.LBB2_539:                              ;   in Loop: Header=BB2_84 Depth=1
	s_andn2_b64 vcc, exec, s[0:1]
	s_cbranch_vccnz .LBB2_541
; %bb.540:                              ;   in Loop: Header=BB2_84 Depth=1
	s_add_u32 s8, s36, 0x1000
	s_addc_u32 s9, s37, 0
	s_mov_b64 s[4:5], s[38:39]
	s_mov_b64 s[10:11], s[34:35]
	s_mov_b32 s12, s45
	s_mov_b32 s13, s44
	;; [unrolled: 1-line block ×3, first 2 shown]
	v_mov_b32_e32 v31, v40
	s_getpc_b64 s[0:1]
	s_add_u32 s0, s0, _Z47ncclDevFunc_ReduceScatter_RING_LL_Sum_f64_0_0_4v@rel32@lo+4
	s_addc_u32 s1, s1, _Z47ncclDevFunc_ReduceScatter_RING_LL_Sum_f64_0_0_4v@rel32@hi+12
	s_swappc_b64 s[30:31], s[0:1]
.LBB2_541:                              ;   in Loop: Header=BB2_84 Depth=1
	s_mov_b64 s[0:1], 0
.LBB2_542:                              ;   in Loop: Header=BB2_84 Depth=1
	s_and_b64 vcc, exec, s[0:1]
	s_cbranch_vccz .LBB2_547
; %bb.543:                              ;   in Loop: Header=BB2_84 Depth=1
	s_cmp_eq_u32 s55, 56
	s_mov_b64 s[0:1], -1
	s_cbranch_scc1 .LBB2_545
; %bb.544:                              ;   in Loop: Header=BB2_84 Depth=1
	s_add_u32 s8, s36, 0x1000
	s_addc_u32 s9, s37, 0
	s_mov_b64 s[4:5], s[38:39]
	s_mov_b64 s[10:11], s[34:35]
	s_mov_b32 s12, s45
	s_mov_b32 s13, s44
	;; [unrolled: 1-line block ×3, first 2 shown]
	v_mov_b32_e32 v31, v40
	s_getpc_b64 s[0:1]
	s_add_u32 s0, s0, _Z47ncclDevFunc_ReduceScatter_RING_LL_Sum_f16_0_0_4v@rel32@lo+4
	s_addc_u32 s1, s1, _Z47ncclDevFunc_ReduceScatter_RING_LL_Sum_f16_0_0_4v@rel32@hi+12
	s_swappc_b64 s[30:31], s[0:1]
	s_mov_b64 s[0:1], 0
.LBB2_545:                              ;   in Loop: Header=BB2_84 Depth=1
	s_andn2_b64 vcc, exec, s[0:1]
	s_cbranch_vccnz .LBB2_547
; %bb.546:                              ;   in Loop: Header=BB2_84 Depth=1
	s_add_u32 s8, s36, 0x1000
	s_addc_u32 s9, s37, 0
	s_mov_b64 s[4:5], s[38:39]
	s_mov_b64 s[10:11], s[34:35]
	s_mov_b32 s12, s45
	s_mov_b32 s13, s44
	;; [unrolled: 1-line block ×3, first 2 shown]
	v_mov_b32_e32 v31, v40
	s_getpc_b64 s[0:1]
	s_add_u32 s0, s0, _Z47ncclDevFunc_ReduceScatter_RING_LL_Sum_f32_0_0_4v@rel32@lo+4
	s_addc_u32 s1, s1, _Z47ncclDevFunc_ReduceScatter_RING_LL_Sum_f32_0_0_4v@rel32@hi+12
	s_swappc_b64 s[30:31], s[0:1]
.LBB2_547:                              ;   in Loop: Header=BB2_84 Depth=1
	s_mov_b64 s[0:1], 0
.LBB2_548:                              ;   in Loop: Header=BB2_84 Depth=1
	s_andn2_b64 vcc, exec, s[0:1]
	s_cbranch_vccnz .LBB2_578
; %bb.549:                              ;   in Loop: Header=BB2_84 Depth=1
	s_cmp_gt_u32 s55, 48
	s_mov_b64 s[0:1], -1
	s_cbranch_scc0 .LBB2_566
; %bb.550:                              ;   in Loop: Header=BB2_84 Depth=1
	s_cmp_gt_u32 s55, 51
	s_cbranch_scc0 .LBB2_560
; %bb.551:                              ;   in Loop: Header=BB2_84 Depth=1
	v_cmp_lt_i16_e64 s[2:3], s55, 53
	s_and_b64 vcc, exec, s[2:3]
	s_cbranch_vccnz .LBB2_557
; %bb.552:                              ;   in Loop: Header=BB2_84 Depth=1
	v_cmp_ne_u16_e64 s[2:3], s55, 53
	s_and_b64 vcc, exec, s[2:3]
	s_cbranch_vccz .LBB2_554
; %bb.553:                              ;   in Loop: Header=BB2_84 Depth=1
	s_add_u32 s8, s36, 0x1000
	s_addc_u32 s9, s37, 0
	s_mov_b64 s[4:5], s[38:39]
	s_mov_b64 s[10:11], s[34:35]
	s_mov_b32 s12, s45
	s_mov_b32 s13, s44
	;; [unrolled: 1-line block ×3, first 2 shown]
	v_mov_b32_e32 v31, v40
	s_getpc_b64 s[0:1]
	s_add_u32 s0, s0, _Z47ncclDevFunc_ReduceScatter_RING_LL_Sum_u64_0_0_4v@rel32@lo+4
	s_addc_u32 s1, s1, _Z47ncclDevFunc_ReduceScatter_RING_LL_Sum_u64_0_0_4v@rel32@hi+12
	s_swappc_b64 s[30:31], s[0:1]
	s_mov_b64 s[0:1], 0
.LBB2_554:                              ;   in Loop: Header=BB2_84 Depth=1
	s_andn2_b64 vcc, exec, s[0:1]
	s_cbranch_vccnz .LBB2_556
; %bb.555:                              ;   in Loop: Header=BB2_84 Depth=1
	s_add_u32 s8, s36, 0x1000
	s_addc_u32 s9, s37, 0
	s_mov_b64 s[4:5], s[38:39]
	s_mov_b64 s[10:11], s[34:35]
	s_mov_b32 s12, s45
	s_mov_b32 s13, s44
	;; [unrolled: 1-line block ×3, first 2 shown]
	v_mov_b32_e32 v31, v40
	s_getpc_b64 s[0:1]
	s_add_u32 s0, s0, _Z47ncclDevFunc_ReduceScatter_RING_LL_Sum_u32_0_0_4v@rel32@lo+4
	s_addc_u32 s1, s1, _Z47ncclDevFunc_ReduceScatter_RING_LL_Sum_u32_0_0_4v@rel32@hi+12
	s_swappc_b64 s[30:31], s[0:1]
.LBB2_556:                              ;   in Loop: Header=BB2_84 Depth=1
	s_mov_b64 s[0:1], 0
.LBB2_557:                              ;   in Loop: Header=BB2_84 Depth=1
	s_andn2_b64 vcc, exec, s[0:1]
	s_cbranch_vccnz .LBB2_559
; %bb.558:                              ;   in Loop: Header=BB2_84 Depth=1
	s_add_u32 s8, s36, 0x1000
	s_addc_u32 s9, s37, 0
	s_mov_b64 s[4:5], s[38:39]
	s_mov_b64 s[10:11], s[34:35]
	s_mov_b32 s12, s45
	s_mov_b32 s13, s44
	;; [unrolled: 1-line block ×3, first 2 shown]
	v_mov_b32_e32 v31, v40
	s_getpc_b64 s[0:1]
	s_add_u32 s0, s0, _Z46ncclDevFunc_ReduceScatter_RING_LL_Sum_u8_0_0_4v@rel32@lo+4
	s_addc_u32 s1, s1, _Z46ncclDevFunc_ReduceScatter_RING_LL_Sum_u8_0_0_4v@rel32@hi+12
	s_swappc_b64 s[30:31], s[0:1]
.LBB2_559:                              ;   in Loop: Header=BB2_84 Depth=1
	s_mov_b64 s[0:1], 0
.LBB2_560:                              ;   in Loop: Header=BB2_84 Depth=1
	s_and_b64 vcc, exec, s[0:1]
	s_cbranch_vccz .LBB2_565
; %bb.561:                              ;   in Loop: Header=BB2_84 Depth=1
	s_cmp_lg_u32 s55, 49
	s_mov_b64 s[0:1], -1
	s_cbranch_scc0 .LBB2_563
; %bb.562:                              ;   in Loop: Header=BB2_84 Depth=1
	s_add_u32 s8, s36, 0x1000
	s_addc_u32 s9, s37, 0
	s_mov_b64 s[4:5], s[38:39]
	s_mov_b64 s[10:11], s[34:35]
	s_mov_b32 s12, s45
	s_mov_b32 s13, s44
	;; [unrolled: 1-line block ×3, first 2 shown]
	v_mov_b32_e32 v31, v40
	s_getpc_b64 s[0:1]
	s_add_u32 s0, s0, _Z45ncclDevFunc_AllGather_PAT_SIMPLE_Sum_i8_0_0_4v@rel32@lo+4
	s_addc_u32 s1, s1, _Z45ncclDevFunc_AllGather_PAT_SIMPLE_Sum_i8_0_0_4v@rel32@hi+12
	s_swappc_b64 s[30:31], s[0:1]
	s_mov_b64 s[0:1], 0
.LBB2_563:                              ;   in Loop: Header=BB2_84 Depth=1
	s_andn2_b64 vcc, exec, s[0:1]
	s_cbranch_vccnz .LBB2_565
; %bb.564:                              ;   in Loop: Header=BB2_84 Depth=1
	s_add_u32 s8, s36, 0x1000
	s_addc_u32 s9, s37, 0
	s_mov_b64 s[4:5], s[38:39]
	s_mov_b64 s[10:11], s[34:35]
	s_mov_b32 s12, s45
	s_mov_b32 s13, s44
	;; [unrolled: 1-line block ×3, first 2 shown]
	v_mov_b32_e32 v31, v40
	s_getpc_b64 s[0:1]
	s_add_u32 s0, s0, _Z41ncclDevFunc_AllGather_PAT_LL_Sum_i8_0_0_4v@rel32@lo+4
	s_addc_u32 s1, s1, _Z41ncclDevFunc_AllGather_PAT_LL_Sum_i8_0_0_4v@rel32@hi+12
	s_swappc_b64 s[30:31], s[0:1]
.LBB2_565:                              ;   in Loop: Header=BB2_84 Depth=1
	s_mov_b64 s[0:1], 0
.LBB2_566:                              ;   in Loop: Header=BB2_84 Depth=1
	s_andn2_b64 vcc, exec, s[0:1]
	s_cbranch_vccnz .LBB2_578
; %bb.567:                              ;   in Loop: Header=BB2_84 Depth=1
	s_cmp_gt_u32 s55, 45
	s_mov_b64 s[0:1], -1
	s_cbranch_scc0 .LBB2_573
; %bb.568:                              ;   in Loop: Header=BB2_84 Depth=1
	s_cmp_lg_u32 s55, 46
	s_cbranch_scc0 .LBB2_570
; %bb.569:                              ;   in Loop: Header=BB2_84 Depth=1
	s_add_u32 s8, s36, 0x1000
	s_addc_u32 s9, s37, 0
	s_mov_b64 s[4:5], s[38:39]
	s_mov_b64 s[10:11], s[34:35]
	s_mov_b32 s12, s45
	s_mov_b32 s13, s44
	;; [unrolled: 1-line block ×3, first 2 shown]
	v_mov_b32_e32 v31, v40
	s_getpc_b64 s[0:1]
	s_add_u32 s0, s0, _Z46ncclDevFunc_AllGather_RING_SIMPLE_Sum_i8_0_0_4v@rel32@lo+4
	s_addc_u32 s1, s1, _Z46ncclDevFunc_AllGather_RING_SIMPLE_Sum_i8_0_0_4v@rel32@hi+12
	s_swappc_b64 s[30:31], s[0:1]
	s_mov_b64 s[0:1], 0
.LBB2_570:                              ;   in Loop: Header=BB2_84 Depth=1
	s_andn2_b64 vcc, exec, s[0:1]
	s_cbranch_vccnz .LBB2_572
; %bb.571:                              ;   in Loop: Header=BB2_84 Depth=1
	s_add_u32 s8, s36, 0x1000
	s_addc_u32 s9, s37, 0
	s_mov_b64 s[4:5], s[38:39]
	s_mov_b64 s[10:11], s[34:35]
	s_mov_b32 s12, s45
	s_mov_b32 s13, s44
	;; [unrolled: 1-line block ×3, first 2 shown]
	v_mov_b32_e32 v31, v40
	s_getpc_b64 s[0:1]
	s_add_u32 s0, s0, _Z42ncclDevFunc_AllGather_RING_LL_Sum_i8_0_0_4v@rel32@lo+4
	s_addc_u32 s1, s1, _Z42ncclDevFunc_AllGather_RING_LL_Sum_i8_0_0_4v@rel32@hi+12
	s_swappc_b64 s[30:31], s[0:1]
.LBB2_572:                              ;   in Loop: Header=BB2_84 Depth=1
	s_mov_b64 s[0:1], 0
.LBB2_573:                              ;   in Loop: Header=BB2_84 Depth=1
	s_andn2_b64 vcc, exec, s[0:1]
	s_cbranch_vccnz .LBB2_578
; %bb.574:                              ;   in Loop: Header=BB2_84 Depth=1
	s_cmp_eq_u32 s55, 45
	s_mov_b64 s[0:1], -1
	s_cbranch_scc1 .LBB2_576
; %bb.575:                              ;   in Loop: Header=BB2_84 Depth=1
	s_add_u32 s8, s36, 0x1000
	s_addc_u32 s9, s37, 0
	s_mov_b64 s[4:5], s[38:39]
	s_mov_b64 s[10:11], s[34:35]
	s_mov_b32 s12, s45
	s_mov_b32 s13, s44
	;; [unrolled: 1-line block ×3, first 2 shown]
	v_mov_b32_e32 v31, v40
	s_getpc_b64 s[0:1]
	s_add_u32 s0, s0, _Z51ncclDevFunc_Reduce_RING_SIMPLE_SumPostDiv_u32_0_0_4v@rel32@lo+4
	s_addc_u32 s1, s1, _Z51ncclDevFunc_Reduce_RING_SIMPLE_SumPostDiv_u32_0_0_4v@rel32@hi+12
	s_swappc_b64 s[30:31], s[0:1]
	s_mov_b64 s[0:1], 0
.LBB2_576:                              ;   in Loop: Header=BB2_84 Depth=1
	s_andn2_b64 vcc, exec, s[0:1]
	s_cbranch_vccnz .LBB2_578
; %bb.577:                              ;   in Loop: Header=BB2_84 Depth=1
	s_add_u32 s8, s36, 0x1000
	s_addc_u32 s9, s37, 0
	s_mov_b64 s[4:5], s[38:39]
	s_mov_b64 s[10:11], s[34:35]
	s_mov_b32 s12, s45
	s_mov_b32 s13, s44
	;; [unrolled: 1-line block ×3, first 2 shown]
	v_mov_b32_e32 v31, v40
	s_getpc_b64 s[0:1]
	s_add_u32 s0, s0, _Z51ncclDevFunc_Reduce_RING_SIMPLE_SumPostDiv_u64_0_0_4v@rel32@lo+4
	s_addc_u32 s1, s1, _Z51ncclDevFunc_Reduce_RING_SIMPLE_SumPostDiv_u64_0_0_4v@rel32@hi+12
	s_swappc_b64 s[30:31], s[0:1]
.LBB2_578:                              ;   in Loop: Header=BB2_84 Depth=1
	s_mov_b64 s[0:1], 0
.LBB2_579:                              ;   in Loop: Header=BB2_84 Depth=1
	s_andn2_b64 vcc, exec, s[0:1]
	s_cbranch_vccnz .LBB2_734
; %bb.580:                              ;   in Loop: Header=BB2_84 Depth=1
	s_cmp_gt_u32 s55, 21
	s_mov_b64 s[0:1], -1
	s_cbranch_scc0 .LBB2_659
; %bb.581:                              ;   in Loop: Header=BB2_84 Depth=1
	s_cmp_gt_u32 s55, 32
	s_cbranch_scc0 .LBB2_620
; %bb.582:                              ;   in Loop: Header=BB2_84 Depth=1
	s_cmp_gt_u32 s55, 37
	;; [unrolled: 3-line block ×3, first 2 shown]
	s_cbranch_scc0 .LBB2_593
; %bb.584:                              ;   in Loop: Header=BB2_84 Depth=1
	v_cmp_lt_i16_e64 s[2:3], s55, 42
	s_and_b64 vcc, exec, s[2:3]
	s_cbranch_vccnz .LBB2_590
; %bb.585:                              ;   in Loop: Header=BB2_84 Depth=1
	v_cmp_ne_u16_e64 s[2:3], s55, 42
	s_and_b64 vcc, exec, s[2:3]
	s_cbranch_vccz .LBB2_587
; %bb.586:                              ;   in Loop: Header=BB2_84 Depth=1
	s_add_u32 s8, s36, 0x1000
	s_addc_u32 s9, s37, 0
	s_mov_b64 s[4:5], s[38:39]
	s_mov_b64 s[10:11], s[34:35]
	s_mov_b32 s12, s45
	s_mov_b32 s13, s44
	;; [unrolled: 1-line block ×3, first 2 shown]
	v_mov_b32_e32 v31, v40
	s_getpc_b64 s[0:1]
	s_add_u32 s0, s0, _Z50ncclDevFunc_Reduce_RING_SIMPLE_SumPostDiv_u8_0_0_4v@rel32@lo+4
	s_addc_u32 s1, s1, _Z50ncclDevFunc_Reduce_RING_SIMPLE_SumPostDiv_u8_0_0_4v@rel32@hi+12
	s_swappc_b64 s[30:31], s[0:1]
	s_mov_b64 s[0:1], 0
.LBB2_587:                              ;   in Loop: Header=BB2_84 Depth=1
	s_andn2_b64 vcc, exec, s[0:1]
	s_cbranch_vccnz .LBB2_589
; %bb.588:                              ;   in Loop: Header=BB2_84 Depth=1
	s_add_u32 s8, s36, 0x1000
	s_addc_u32 s9, s37, 0
	s_mov_b64 s[4:5], s[38:39]
	s_mov_b64 s[10:11], s[34:35]
	s_mov_b32 s12, s45
	s_mov_b32 s13, s44
	;; [unrolled: 1-line block ×3, first 2 shown]
	v_mov_b32_e32 v31, v40
	s_getpc_b64 s[0:1]
	s_add_u32 s0, s0, _Z53ncclDevFunc_Reduce_RING_SIMPLE_PreMulSum_f8e5m2_0_0_4v@rel32@lo+4
	s_addc_u32 s1, s1, _Z53ncclDevFunc_Reduce_RING_SIMPLE_PreMulSum_f8e5m2_0_0_4v@rel32@hi+12
	s_swappc_b64 s[30:31], s[0:1]
.LBB2_589:                              ;   in Loop: Header=BB2_84 Depth=1
	s_mov_b64 s[0:1], 0
.LBB2_590:                              ;   in Loop: Header=BB2_84 Depth=1
	s_andn2_b64 vcc, exec, s[0:1]
	s_cbranch_vccnz .LBB2_592
; %bb.591:                              ;   in Loop: Header=BB2_84 Depth=1
	s_add_u32 s8, s36, 0x1000
	s_addc_u32 s9, s37, 0
	s_mov_b64 s[4:5], s[38:39]
	s_mov_b64 s[10:11], s[34:35]
	s_mov_b32 s12, s45
	s_mov_b32 s13, s44
	;; [unrolled: 1-line block ×3, first 2 shown]
	v_mov_b32_e32 v31, v40
	s_getpc_b64 s[0:1]
	s_add_u32 s0, s0, _Z53ncclDevFunc_Reduce_RING_SIMPLE_PreMulSum_f8e4m3_0_0_4v@rel32@lo+4
	s_addc_u32 s1, s1, _Z53ncclDevFunc_Reduce_RING_SIMPLE_PreMulSum_f8e4m3_0_0_4v@rel32@hi+12
	s_swappc_b64 s[30:31], s[0:1]
.LBB2_592:                              ;   in Loop: Header=BB2_84 Depth=1
	s_mov_b64 s[0:1], 0
.LBB2_593:                              ;   in Loop: Header=BB2_84 Depth=1
	s_and_b64 vcc, exec, s[0:1]
	s_cbranch_vccz .LBB2_602
; %bb.594:                              ;   in Loop: Header=BB2_84 Depth=1
	v_cmp_lt_i16_e64 s[2:3], s55, 39
	s_mov_b64 s[0:1], -1
	s_and_b64 vcc, exec, s[2:3]
	s_cbranch_vccnz .LBB2_600
; %bb.595:                              ;   in Loop: Header=BB2_84 Depth=1
	v_cmp_ne_u16_e64 s[2:3], s55, 39
	s_and_b64 vcc, exec, s[2:3]
	s_cbranch_vccz .LBB2_597
; %bb.596:                              ;   in Loop: Header=BB2_84 Depth=1
	s_add_u32 s8, s36, 0x1000
	s_addc_u32 s9, s37, 0
	s_mov_b64 s[4:5], s[38:39]
	s_mov_b64 s[10:11], s[34:35]
	s_mov_b32 s12, s45
	s_mov_b32 s13, s44
	;; [unrolled: 1-line block ×3, first 2 shown]
	v_mov_b32_e32 v31, v40
	s_getpc_b64 s[0:1]
	s_add_u32 s0, s0, _Z51ncclDevFunc_Reduce_RING_SIMPLE_PreMulSum_bf16_0_1_4v@rel32@lo+4
	s_addc_u32 s1, s1, _Z51ncclDevFunc_Reduce_RING_SIMPLE_PreMulSum_bf16_0_1_4v@rel32@hi+12
	s_swappc_b64 s[30:31], s[0:1]
	s_mov_b64 s[0:1], 0
.LBB2_597:                              ;   in Loop: Header=BB2_84 Depth=1
	s_andn2_b64 vcc, exec, s[0:1]
	s_cbranch_vccnz .LBB2_599
; %bb.598:                              ;   in Loop: Header=BB2_84 Depth=1
	s_add_u32 s8, s36, 0x1000
	s_addc_u32 s9, s37, 0
	s_mov_b64 s[4:5], s[38:39]
	s_mov_b64 s[10:11], s[34:35]
	s_mov_b32 s12, s45
	s_mov_b32 s13, s44
	;; [unrolled: 1-line block ×3, first 2 shown]
	v_mov_b32_e32 v31, v40
	s_getpc_b64 s[0:1]
	s_add_u32 s0, s0, _Z51ncclDevFunc_Reduce_RING_SIMPLE_PreMulSum_bf16_0_0_4v@rel32@lo+4
	s_addc_u32 s1, s1, _Z51ncclDevFunc_Reduce_RING_SIMPLE_PreMulSum_bf16_0_0_4v@rel32@hi+12
	s_swappc_b64 s[30:31], s[0:1]
.LBB2_599:                              ;   in Loop: Header=BB2_84 Depth=1
	s_mov_b64 s[0:1], 0
.LBB2_600:                              ;   in Loop: Header=BB2_84 Depth=1
	s_andn2_b64 vcc, exec, s[0:1]
	s_cbranch_vccnz .LBB2_602
; %bb.601:                              ;   in Loop: Header=BB2_84 Depth=1
	s_add_u32 s8, s36, 0x1000
	s_addc_u32 s9, s37, 0
	s_mov_b64 s[4:5], s[38:39]
	s_mov_b64 s[10:11], s[34:35]
	s_mov_b32 s12, s45
	s_mov_b32 s13, s44
	;; [unrolled: 1-line block ×3, first 2 shown]
	v_mov_b32_e32 v31, v40
	s_getpc_b64 s[0:1]
	s_add_u32 s0, s0, _Z50ncclDevFunc_Reduce_RING_SIMPLE_PreMulSum_f64_0_0_4v@rel32@lo+4
	s_addc_u32 s1, s1, _Z50ncclDevFunc_Reduce_RING_SIMPLE_PreMulSum_f64_0_0_4v@rel32@hi+12
	s_swappc_b64 s[30:31], s[0:1]
.LBB2_602:                              ;   in Loop: Header=BB2_84 Depth=1
	s_mov_b64 s[0:1], 0
.LBB2_603:                              ;   in Loop: Header=BB2_84 Depth=1
	s_andn2_b64 vcc, exec, s[0:1]
	s_cbranch_vccnz .LBB2_619
; %bb.604:                              ;   in Loop: Header=BB2_84 Depth=1
	s_cmp_gt_u32 s55, 34
	s_mov_b64 s[0:1], -1
	s_cbranch_scc0 .LBB2_614
; %bb.605:                              ;   in Loop: Header=BB2_84 Depth=1
	v_cmp_lt_i16_e64 s[2:3], s55, 36
	s_and_b64 vcc, exec, s[2:3]
	s_cbranch_vccnz .LBB2_611
; %bb.606:                              ;   in Loop: Header=BB2_84 Depth=1
	v_cmp_ne_u16_e64 s[2:3], s55, 36
	s_and_b64 vcc, exec, s[2:3]
	s_cbranch_vccz .LBB2_608
; %bb.607:                              ;   in Loop: Header=BB2_84 Depth=1
	s_add_u32 s8, s36, 0x1000
	s_addc_u32 s9, s37, 0
	s_mov_b64 s[4:5], s[38:39]
	s_mov_b64 s[10:11], s[34:35]
	s_mov_b32 s12, s45
	s_mov_b32 s13, s44
	;; [unrolled: 1-line block ×3, first 2 shown]
	v_mov_b32_e32 v31, v40
	s_getpc_b64 s[0:1]
	s_add_u32 s0, s0, _Z50ncclDevFunc_Reduce_RING_SIMPLE_PreMulSum_f32_0_0_4v@rel32@lo+4
	s_addc_u32 s1, s1, _Z50ncclDevFunc_Reduce_RING_SIMPLE_PreMulSum_f32_0_0_4v@rel32@hi+12
	s_swappc_b64 s[30:31], s[0:1]
	s_mov_b64 s[0:1], 0
.LBB2_608:                              ;   in Loop: Header=BB2_84 Depth=1
	s_andn2_b64 vcc, exec, s[0:1]
	s_cbranch_vccnz .LBB2_610
; %bb.609:                              ;   in Loop: Header=BB2_84 Depth=1
	s_add_u32 s8, s36, 0x1000
	s_addc_u32 s9, s37, 0
	s_mov_b64 s[4:5], s[38:39]
	s_mov_b64 s[10:11], s[34:35]
	s_mov_b32 s12, s45
	s_mov_b32 s13, s44
	;; [unrolled: 1-line block ×3, first 2 shown]
	v_mov_b32_e32 v31, v40
	s_getpc_b64 s[0:1]
	s_add_u32 s0, s0, _Z50ncclDevFunc_Reduce_RING_SIMPLE_PreMulSum_f16_0_0_4v@rel32@lo+4
	s_addc_u32 s1, s1, _Z50ncclDevFunc_Reduce_RING_SIMPLE_PreMulSum_f16_0_0_4v@rel32@hi+12
	s_swappc_b64 s[30:31], s[0:1]
.LBB2_610:                              ;   in Loop: Header=BB2_84 Depth=1
	s_mov_b64 s[0:1], 0
.LBB2_611:                              ;   in Loop: Header=BB2_84 Depth=1
	s_andn2_b64 vcc, exec, s[0:1]
	s_cbranch_vccnz .LBB2_613
; %bb.612:                              ;   in Loop: Header=BB2_84 Depth=1
	s_add_u32 s8, s36, 0x1000
	s_addc_u32 s9, s37, 0
	s_mov_b64 s[4:5], s[38:39]
	s_mov_b64 s[10:11], s[34:35]
	s_mov_b32 s12, s45
	s_mov_b32 s13, s44
	;; [unrolled: 1-line block ×3, first 2 shown]
	v_mov_b32_e32 v31, v40
	s_getpc_b64 s[0:1]
	s_add_u32 s0, s0, _Z50ncclDevFunc_Reduce_RING_SIMPLE_PreMulSum_u64_0_0_4v@rel32@lo+4
	s_addc_u32 s1, s1, _Z50ncclDevFunc_Reduce_RING_SIMPLE_PreMulSum_u64_0_0_4v@rel32@hi+12
	s_swappc_b64 s[30:31], s[0:1]
.LBB2_613:                              ;   in Loop: Header=BB2_84 Depth=1
	s_mov_b64 s[0:1], 0
.LBB2_614:                              ;   in Loop: Header=BB2_84 Depth=1
	s_and_b64 vcc, exec, s[0:1]
	s_cbranch_vccz .LBB2_619
; %bb.615:                              ;   in Loop: Header=BB2_84 Depth=1
	s_cmp_eq_u32 s55, 34
	s_mov_b64 s[0:1], -1
	s_cbranch_scc1 .LBB2_617
; %bb.616:                              ;   in Loop: Header=BB2_84 Depth=1
	s_add_u32 s8, s36, 0x1000
	s_addc_u32 s9, s37, 0
	s_mov_b64 s[4:5], s[38:39]
	s_mov_b64 s[10:11], s[34:35]
	s_mov_b32 s12, s45
	s_mov_b32 s13, s44
	s_mov_b32 s14, s33
	v_mov_b32_e32 v31, v40
	s_getpc_b64 s[0:1]
	s_add_u32 s0, s0, _Z49ncclDevFunc_Reduce_RING_SIMPLE_PreMulSum_u8_0_0_4v@rel32@lo+4
	s_addc_u32 s1, s1, _Z49ncclDevFunc_Reduce_RING_SIMPLE_PreMulSum_u8_0_0_4v@rel32@hi+12
	s_swappc_b64 s[30:31], s[0:1]
	s_mov_b64 s[0:1], 0
.LBB2_617:                              ;   in Loop: Header=BB2_84 Depth=1
	s_andn2_b64 vcc, exec, s[0:1]
	s_cbranch_vccnz .LBB2_619
; %bb.618:                              ;   in Loop: Header=BB2_84 Depth=1
	s_add_u32 s8, s36, 0x1000
	s_addc_u32 s9, s37, 0
	s_mov_b64 s[4:5], s[38:39]
	s_mov_b64 s[10:11], s[34:35]
	s_mov_b32 s12, s45
	s_mov_b32 s13, s44
	;; [unrolled: 1-line block ×3, first 2 shown]
	v_mov_b32_e32 v31, v40
	s_getpc_b64 s[0:1]
	s_add_u32 s0, s0, _Z50ncclDevFunc_Reduce_RING_SIMPLE_PreMulSum_u32_0_0_4v@rel32@lo+4
	s_addc_u32 s1, s1, _Z50ncclDevFunc_Reduce_RING_SIMPLE_PreMulSum_u32_0_0_4v@rel32@hi+12
	s_swappc_b64 s[30:31], s[0:1]
.LBB2_619:                              ;   in Loop: Header=BB2_84 Depth=1
	s_mov_b64 s[0:1], 0
.LBB2_620:                              ;   in Loop: Header=BB2_84 Depth=1
	s_andn2_b64 vcc, exec, s[0:1]
	s_cbranch_vccnz .LBB2_658
; %bb.621:                              ;   in Loop: Header=BB2_84 Depth=1
	s_cmp_gt_u32 s55, 26
	s_mov_b64 s[0:1], -1
	s_cbranch_scc0 .LBB2_642
; %bb.622:                              ;   in Loop: Header=BB2_84 Depth=1
	s_cmp_gt_u32 s55, 29
	s_cbranch_scc0 .LBB2_632
; %bb.623:                              ;   in Loop: Header=BB2_84 Depth=1
	v_cmp_lt_i16_e64 s[2:3], s55, 31
	s_and_b64 vcc, exec, s[2:3]
	s_cbranch_vccnz .LBB2_629
; %bb.624:                              ;   in Loop: Header=BB2_84 Depth=1
	v_cmp_ne_u16_e64 s[2:3], s55, 31
	s_and_b64 vcc, exec, s[2:3]
	s_cbranch_vccz .LBB2_626
; %bb.625:                              ;   in Loop: Header=BB2_84 Depth=1
	s_add_u32 s8, s36, 0x1000
	s_addc_u32 s9, s37, 0
	s_mov_b64 s[4:5], s[38:39]
	s_mov_b64 s[10:11], s[34:35]
	s_mov_b32 s12, s45
	s_mov_b32 s13, s44
	;; [unrolled: 1-line block ×3, first 2 shown]
	v_mov_b32_e32 v31, v40
	s_getpc_b64 s[0:1]
	s_add_u32 s0, s0, _Z50ncclDevFunc_Reduce_RING_SIMPLE_MinMax_f8e5m2_0_0_4v@rel32@lo+4
	s_addc_u32 s1, s1, _Z50ncclDevFunc_Reduce_RING_SIMPLE_MinMax_f8e5m2_0_0_4v@rel32@hi+12
	s_swappc_b64 s[30:31], s[0:1]
	s_mov_b64 s[0:1], 0
.LBB2_626:                              ;   in Loop: Header=BB2_84 Depth=1
	s_andn2_b64 vcc, exec, s[0:1]
	s_cbranch_vccnz .LBB2_628
; %bb.627:                              ;   in Loop: Header=BB2_84 Depth=1
	s_add_u32 s8, s36, 0x1000
	s_addc_u32 s9, s37, 0
	s_mov_b64 s[4:5], s[38:39]
	s_mov_b64 s[10:11], s[34:35]
	s_mov_b32 s12, s45
	s_mov_b32 s13, s44
	;; [unrolled: 1-line block ×3, first 2 shown]
	v_mov_b32_e32 v31, v40
	s_getpc_b64 s[0:1]
	s_add_u32 s0, s0, _Z50ncclDevFunc_Reduce_RING_SIMPLE_MinMax_f8e4m3_0_0_4v@rel32@lo+4
	s_addc_u32 s1, s1, _Z50ncclDevFunc_Reduce_RING_SIMPLE_MinMax_f8e4m3_0_0_4v@rel32@hi+12
	s_swappc_b64 s[30:31], s[0:1]
.LBB2_628:                              ;   in Loop: Header=BB2_84 Depth=1
	s_mov_b64 s[0:1], 0
.LBB2_629:                              ;   in Loop: Header=BB2_84 Depth=1
	s_andn2_b64 vcc, exec, s[0:1]
	s_cbranch_vccnz .LBB2_631
; %bb.630:                              ;   in Loop: Header=BB2_84 Depth=1
	s_add_u32 s8, s36, 0x1000
	s_addc_u32 s9, s37, 0
	s_mov_b64 s[4:5], s[38:39]
	s_mov_b64 s[10:11], s[34:35]
	s_mov_b32 s12, s45
	s_mov_b32 s13, s44
	s_mov_b32 s14, s33
	v_mov_b32_e32 v31, v40
	s_getpc_b64 s[0:1]
	s_add_u32 s0, s0, _Z48ncclDevFunc_Reduce_RING_SIMPLE_MinMax_bf16_0_1_4v@rel32@lo+4
	s_addc_u32 s1, s1, _Z48ncclDevFunc_Reduce_RING_SIMPLE_MinMax_bf16_0_1_4v@rel32@hi+12
	s_swappc_b64 s[30:31], s[0:1]
.LBB2_631:                              ;   in Loop: Header=BB2_84 Depth=1
	s_mov_b64 s[0:1], 0
.LBB2_632:                              ;   in Loop: Header=BB2_84 Depth=1
	s_and_b64 vcc, exec, s[0:1]
	s_cbranch_vccz .LBB2_641
; %bb.633:                              ;   in Loop: Header=BB2_84 Depth=1
	v_cmp_lt_i16_e64 s[2:3], s55, 28
	s_mov_b64 s[0:1], -1
	s_and_b64 vcc, exec, s[2:3]
	s_cbranch_vccnz .LBB2_639
; %bb.634:                              ;   in Loop: Header=BB2_84 Depth=1
	v_cmp_ne_u16_e64 s[2:3], s55, 28
	s_and_b64 vcc, exec, s[2:3]
	s_cbranch_vccz .LBB2_636
; %bb.635:                              ;   in Loop: Header=BB2_84 Depth=1
	s_add_u32 s8, s36, 0x1000
	s_addc_u32 s9, s37, 0
	s_mov_b64 s[4:5], s[38:39]
	s_mov_b64 s[10:11], s[34:35]
	s_mov_b32 s12, s45
	s_mov_b32 s13, s44
	;; [unrolled: 1-line block ×3, first 2 shown]
	v_mov_b32_e32 v31, v40
	s_getpc_b64 s[0:1]
	s_add_u32 s0, s0, _Z48ncclDevFunc_Reduce_RING_SIMPLE_MinMax_bf16_0_0_4v@rel32@lo+4
	s_addc_u32 s1, s1, _Z48ncclDevFunc_Reduce_RING_SIMPLE_MinMax_bf16_0_0_4v@rel32@hi+12
	s_swappc_b64 s[30:31], s[0:1]
	s_mov_b64 s[0:1], 0
.LBB2_636:                              ;   in Loop: Header=BB2_84 Depth=1
	s_andn2_b64 vcc, exec, s[0:1]
	s_cbranch_vccnz .LBB2_638
; %bb.637:                              ;   in Loop: Header=BB2_84 Depth=1
	s_add_u32 s8, s36, 0x1000
	s_addc_u32 s9, s37, 0
	s_mov_b64 s[4:5], s[38:39]
	s_mov_b64 s[10:11], s[34:35]
	s_mov_b32 s12, s45
	s_mov_b32 s13, s44
	;; [unrolled: 1-line block ×3, first 2 shown]
	v_mov_b32_e32 v31, v40
	s_getpc_b64 s[0:1]
	s_add_u32 s0, s0, _Z47ncclDevFunc_Reduce_RING_SIMPLE_MinMax_f64_0_0_4v@rel32@lo+4
	s_addc_u32 s1, s1, _Z47ncclDevFunc_Reduce_RING_SIMPLE_MinMax_f64_0_0_4v@rel32@hi+12
	s_swappc_b64 s[30:31], s[0:1]
.LBB2_638:                              ;   in Loop: Header=BB2_84 Depth=1
	s_mov_b64 s[0:1], 0
.LBB2_639:                              ;   in Loop: Header=BB2_84 Depth=1
	s_andn2_b64 vcc, exec, s[0:1]
	s_cbranch_vccnz .LBB2_641
; %bb.640:                              ;   in Loop: Header=BB2_84 Depth=1
	s_add_u32 s8, s36, 0x1000
	s_addc_u32 s9, s37, 0
	s_mov_b64 s[4:5], s[38:39]
	s_mov_b64 s[10:11], s[34:35]
	s_mov_b32 s12, s45
	s_mov_b32 s13, s44
	;; [unrolled: 1-line block ×3, first 2 shown]
	v_mov_b32_e32 v31, v40
	s_getpc_b64 s[0:1]
	s_add_u32 s0, s0, _Z47ncclDevFunc_Reduce_RING_SIMPLE_MinMax_f32_0_0_4v@rel32@lo+4
	s_addc_u32 s1, s1, _Z47ncclDevFunc_Reduce_RING_SIMPLE_MinMax_f32_0_0_4v@rel32@hi+12
	s_swappc_b64 s[30:31], s[0:1]
.LBB2_641:                              ;   in Loop: Header=BB2_84 Depth=1
	s_mov_b64 s[0:1], 0
.LBB2_642:                              ;   in Loop: Header=BB2_84 Depth=1
	s_andn2_b64 vcc, exec, s[0:1]
	s_cbranch_vccnz .LBB2_658
; %bb.643:                              ;   in Loop: Header=BB2_84 Depth=1
	s_cmp_gt_u32 s55, 23
	s_mov_b64 s[0:1], -1
	s_cbranch_scc0 .LBB2_653
; %bb.644:                              ;   in Loop: Header=BB2_84 Depth=1
	v_cmp_lt_i16_e64 s[2:3], s55, 25
	s_and_b64 vcc, exec, s[2:3]
	s_cbranch_vccnz .LBB2_650
; %bb.645:                              ;   in Loop: Header=BB2_84 Depth=1
	v_cmp_ne_u16_e64 s[2:3], s55, 25
	s_and_b64 vcc, exec, s[2:3]
	s_cbranch_vccz .LBB2_647
; %bb.646:                              ;   in Loop: Header=BB2_84 Depth=1
	s_add_u32 s8, s36, 0x1000
	s_addc_u32 s9, s37, 0
	s_mov_b64 s[4:5], s[38:39]
	s_mov_b64 s[10:11], s[34:35]
	s_mov_b32 s12, s45
	s_mov_b32 s13, s44
	;; [unrolled: 1-line block ×3, first 2 shown]
	v_mov_b32_e32 v31, v40
	s_getpc_b64 s[0:1]
	s_add_u32 s0, s0, _Z47ncclDevFunc_Reduce_RING_SIMPLE_MinMax_f16_0_0_4v@rel32@lo+4
	s_addc_u32 s1, s1, _Z47ncclDevFunc_Reduce_RING_SIMPLE_MinMax_f16_0_0_4v@rel32@hi+12
	s_swappc_b64 s[30:31], s[0:1]
	s_mov_b64 s[0:1], 0
.LBB2_647:                              ;   in Loop: Header=BB2_84 Depth=1
	s_andn2_b64 vcc, exec, s[0:1]
	s_cbranch_vccnz .LBB2_649
; %bb.648:                              ;   in Loop: Header=BB2_84 Depth=1
	s_add_u32 s8, s36, 0x1000
	s_addc_u32 s9, s37, 0
	s_mov_b64 s[4:5], s[38:39]
	s_mov_b64 s[10:11], s[34:35]
	s_mov_b32 s12, s45
	s_mov_b32 s13, s44
	;; [unrolled: 1-line block ×3, first 2 shown]
	v_mov_b32_e32 v31, v40
	s_getpc_b64 s[0:1]
	s_add_u32 s0, s0, _Z47ncclDevFunc_Reduce_RING_SIMPLE_MinMax_u64_0_0_4v@rel32@lo+4
	s_addc_u32 s1, s1, _Z47ncclDevFunc_Reduce_RING_SIMPLE_MinMax_u64_0_0_4v@rel32@hi+12
	s_swappc_b64 s[30:31], s[0:1]
.LBB2_649:                              ;   in Loop: Header=BB2_84 Depth=1
	s_mov_b64 s[0:1], 0
.LBB2_650:                              ;   in Loop: Header=BB2_84 Depth=1
	s_andn2_b64 vcc, exec, s[0:1]
	s_cbranch_vccnz .LBB2_652
; %bb.651:                              ;   in Loop: Header=BB2_84 Depth=1
	s_add_u32 s8, s36, 0x1000
	s_addc_u32 s9, s37, 0
	s_mov_b64 s[4:5], s[38:39]
	s_mov_b64 s[10:11], s[34:35]
	s_mov_b32 s12, s45
	s_mov_b32 s13, s44
	;; [unrolled: 1-line block ×3, first 2 shown]
	v_mov_b32_e32 v31, v40
	s_getpc_b64 s[0:1]
	s_add_u32 s0, s0, _Z47ncclDevFunc_Reduce_RING_SIMPLE_MinMax_u32_0_0_4v@rel32@lo+4
	s_addc_u32 s1, s1, _Z47ncclDevFunc_Reduce_RING_SIMPLE_MinMax_u32_0_0_4v@rel32@hi+12
	s_swappc_b64 s[30:31], s[0:1]
.LBB2_652:                              ;   in Loop: Header=BB2_84 Depth=1
	s_mov_b64 s[0:1], 0
.LBB2_653:                              ;   in Loop: Header=BB2_84 Depth=1
	s_and_b64 vcc, exec, s[0:1]
	s_cbranch_vccz .LBB2_658
; %bb.654:                              ;   in Loop: Header=BB2_84 Depth=1
	s_cmp_eq_u32 s55, 23
	s_mov_b64 s[0:1], -1
	s_cbranch_scc1 .LBB2_656
; %bb.655:                              ;   in Loop: Header=BB2_84 Depth=1
	s_add_u32 s8, s36, 0x1000
	s_addc_u32 s9, s37, 0
	s_mov_b64 s[4:5], s[38:39]
	s_mov_b64 s[10:11], s[34:35]
	s_mov_b32 s12, s45
	s_mov_b32 s13, s44
	;; [unrolled: 1-line block ×3, first 2 shown]
	v_mov_b32_e32 v31, v40
	s_getpc_b64 s[0:1]
	s_add_u32 s0, s0, _Z48ncclDevFunc_Reduce_RING_SIMPLE_Prod_f8e5m2_0_0_4v@rel32@lo+4
	s_addc_u32 s1, s1, _Z48ncclDevFunc_Reduce_RING_SIMPLE_Prod_f8e5m2_0_0_4v@rel32@hi+12
	s_swappc_b64 s[30:31], s[0:1]
	s_mov_b64 s[0:1], 0
.LBB2_656:                              ;   in Loop: Header=BB2_84 Depth=1
	s_andn2_b64 vcc, exec, s[0:1]
	s_cbranch_vccnz .LBB2_658
; %bb.657:                              ;   in Loop: Header=BB2_84 Depth=1
	s_add_u32 s8, s36, 0x1000
	s_addc_u32 s9, s37, 0
	s_mov_b64 s[4:5], s[38:39]
	s_mov_b64 s[10:11], s[34:35]
	s_mov_b32 s12, s45
	s_mov_b32 s13, s44
	;; [unrolled: 1-line block ×3, first 2 shown]
	v_mov_b32_e32 v31, v40
	s_getpc_b64 s[0:1]
	s_add_u32 s0, s0, _Z46ncclDevFunc_Reduce_RING_SIMPLE_MinMax_u8_0_0_4v@rel32@lo+4
	s_addc_u32 s1, s1, _Z46ncclDevFunc_Reduce_RING_SIMPLE_MinMax_u8_0_0_4v@rel32@hi+12
	s_swappc_b64 s[30:31], s[0:1]
.LBB2_658:                              ;   in Loop: Header=BB2_84 Depth=1
	s_mov_b64 s[0:1], 0
.LBB2_659:                              ;   in Loop: Header=BB2_84 Depth=1
	s_andn2_b64 vcc, exec, s[0:1]
	s_cbranch_vccnz .LBB2_734
; %bb.660:                              ;   in Loop: Header=BB2_84 Depth=1
	s_cmp_gt_u32 s55, 10
	s_mov_b64 s[0:1], -1
	s_cbranch_scc0 .LBB2_699
; %bb.661:                              ;   in Loop: Header=BB2_84 Depth=1
	s_cmp_gt_u32 s55, 15
	s_cbranch_scc0 .LBB2_682
; %bb.662:                              ;   in Loop: Header=BB2_84 Depth=1
	s_cmp_gt_u32 s55, 18
	s_cbranch_scc0 .LBB2_672
; %bb.663:                              ;   in Loop: Header=BB2_84 Depth=1
	v_cmp_lt_i16_e64 s[2:3], s55, 20
	s_and_b64 vcc, exec, s[2:3]
	s_cbranch_vccnz .LBB2_669
; %bb.664:                              ;   in Loop: Header=BB2_84 Depth=1
	v_cmp_ne_u16_e64 s[2:3], s55, 20
	s_and_b64 vcc, exec, s[2:3]
	s_cbranch_vccz .LBB2_666
; %bb.665:                              ;   in Loop: Header=BB2_84 Depth=1
	s_add_u32 s8, s36, 0x1000
	s_addc_u32 s9, s37, 0
	s_mov_b64 s[4:5], s[38:39]
	s_mov_b64 s[10:11], s[34:35]
	s_mov_b32 s12, s45
	s_mov_b32 s13, s44
	;; [unrolled: 1-line block ×3, first 2 shown]
	v_mov_b32_e32 v31, v40
	s_getpc_b64 s[0:1]
	s_add_u32 s0, s0, _Z48ncclDevFunc_Reduce_RING_SIMPLE_Prod_f8e4m3_0_0_4v@rel32@lo+4
	s_addc_u32 s1, s1, _Z48ncclDevFunc_Reduce_RING_SIMPLE_Prod_f8e4m3_0_0_4v@rel32@hi+12
	s_swappc_b64 s[30:31], s[0:1]
	s_mov_b64 s[0:1], 0
.LBB2_666:                              ;   in Loop: Header=BB2_84 Depth=1
	s_andn2_b64 vcc, exec, s[0:1]
	s_cbranch_vccnz .LBB2_668
; %bb.667:                              ;   in Loop: Header=BB2_84 Depth=1
	s_add_u32 s8, s36, 0x1000
	s_addc_u32 s9, s37, 0
	s_mov_b64 s[4:5], s[38:39]
	s_mov_b64 s[10:11], s[34:35]
	s_mov_b32 s12, s45
	s_mov_b32 s13, s44
	;; [unrolled: 1-line block ×3, first 2 shown]
	v_mov_b32_e32 v31, v40
	s_getpc_b64 s[0:1]
	s_add_u32 s0, s0, _Z46ncclDevFunc_Reduce_RING_SIMPLE_Prod_bf16_0_1_4v@rel32@lo+4
	s_addc_u32 s1, s1, _Z46ncclDevFunc_Reduce_RING_SIMPLE_Prod_bf16_0_1_4v@rel32@hi+12
	s_swappc_b64 s[30:31], s[0:1]
.LBB2_668:                              ;   in Loop: Header=BB2_84 Depth=1
	s_mov_b64 s[0:1], 0
.LBB2_669:                              ;   in Loop: Header=BB2_84 Depth=1
	s_andn2_b64 vcc, exec, s[0:1]
	s_cbranch_vccnz .LBB2_671
; %bb.670:                              ;   in Loop: Header=BB2_84 Depth=1
	s_add_u32 s8, s36, 0x1000
	s_addc_u32 s9, s37, 0
	s_mov_b64 s[4:5], s[38:39]
	s_mov_b64 s[10:11], s[34:35]
	s_mov_b32 s12, s45
	s_mov_b32 s13, s44
	;; [unrolled: 1-line block ×3, first 2 shown]
	v_mov_b32_e32 v31, v40
	s_getpc_b64 s[0:1]
	s_add_u32 s0, s0, _Z46ncclDevFunc_Reduce_RING_SIMPLE_Prod_bf16_0_0_4v@rel32@lo+4
	s_addc_u32 s1, s1, _Z46ncclDevFunc_Reduce_RING_SIMPLE_Prod_bf16_0_0_4v@rel32@hi+12
	s_swappc_b64 s[30:31], s[0:1]
.LBB2_671:                              ;   in Loop: Header=BB2_84 Depth=1
	s_mov_b64 s[0:1], 0
.LBB2_672:                              ;   in Loop: Header=BB2_84 Depth=1
	s_and_b64 vcc, exec, s[0:1]
	s_cbranch_vccz .LBB2_681
; %bb.673:                              ;   in Loop: Header=BB2_84 Depth=1
	v_cmp_lt_i16_e64 s[2:3], s55, 17
	s_mov_b64 s[0:1], -1
	s_and_b64 vcc, exec, s[2:3]
	s_cbranch_vccnz .LBB2_679
; %bb.674:                              ;   in Loop: Header=BB2_84 Depth=1
	v_cmp_ne_u16_e64 s[2:3], s55, 17
	s_and_b64 vcc, exec, s[2:3]
	s_cbranch_vccz .LBB2_676
; %bb.675:                              ;   in Loop: Header=BB2_84 Depth=1
	s_add_u32 s8, s36, 0x1000
	s_addc_u32 s9, s37, 0
	s_mov_b64 s[4:5], s[38:39]
	s_mov_b64 s[10:11], s[34:35]
	s_mov_b32 s12, s45
	s_mov_b32 s13, s44
	;; [unrolled: 1-line block ×3, first 2 shown]
	v_mov_b32_e32 v31, v40
	s_getpc_b64 s[0:1]
	s_add_u32 s0, s0, _Z45ncclDevFunc_Reduce_RING_SIMPLE_Prod_f64_0_0_4v@rel32@lo+4
	s_addc_u32 s1, s1, _Z45ncclDevFunc_Reduce_RING_SIMPLE_Prod_f64_0_0_4v@rel32@hi+12
	s_swappc_b64 s[30:31], s[0:1]
	s_mov_b64 s[0:1], 0
.LBB2_676:                              ;   in Loop: Header=BB2_84 Depth=1
	s_andn2_b64 vcc, exec, s[0:1]
	s_cbranch_vccnz .LBB2_678
; %bb.677:                              ;   in Loop: Header=BB2_84 Depth=1
	s_add_u32 s8, s36, 0x1000
	s_addc_u32 s9, s37, 0
	s_mov_b64 s[4:5], s[38:39]
	s_mov_b64 s[10:11], s[34:35]
	s_mov_b32 s12, s45
	s_mov_b32 s13, s44
	;; [unrolled: 1-line block ×3, first 2 shown]
	v_mov_b32_e32 v31, v40
	s_getpc_b64 s[0:1]
	s_add_u32 s0, s0, _Z45ncclDevFunc_Reduce_RING_SIMPLE_Prod_f32_0_0_4v@rel32@lo+4
	s_addc_u32 s1, s1, _Z45ncclDevFunc_Reduce_RING_SIMPLE_Prod_f32_0_0_4v@rel32@hi+12
	s_swappc_b64 s[30:31], s[0:1]
.LBB2_678:                              ;   in Loop: Header=BB2_84 Depth=1
	s_mov_b64 s[0:1], 0
.LBB2_679:                              ;   in Loop: Header=BB2_84 Depth=1
	s_andn2_b64 vcc, exec, s[0:1]
	s_cbranch_vccnz .LBB2_681
; %bb.680:                              ;   in Loop: Header=BB2_84 Depth=1
	s_add_u32 s8, s36, 0x1000
	s_addc_u32 s9, s37, 0
	s_mov_b64 s[4:5], s[38:39]
	s_mov_b64 s[10:11], s[34:35]
	s_mov_b32 s12, s45
	s_mov_b32 s13, s44
	;; [unrolled: 1-line block ×3, first 2 shown]
	v_mov_b32_e32 v31, v40
	s_getpc_b64 s[0:1]
	s_add_u32 s0, s0, _Z45ncclDevFunc_Reduce_RING_SIMPLE_Prod_f16_0_0_4v@rel32@lo+4
	s_addc_u32 s1, s1, _Z45ncclDevFunc_Reduce_RING_SIMPLE_Prod_f16_0_0_4v@rel32@hi+12
	s_swappc_b64 s[30:31], s[0:1]
.LBB2_681:                              ;   in Loop: Header=BB2_84 Depth=1
	s_mov_b64 s[0:1], 0
.LBB2_682:                              ;   in Loop: Header=BB2_84 Depth=1
	s_andn2_b64 vcc, exec, s[0:1]
	s_cbranch_vccnz .LBB2_698
; %bb.683:                              ;   in Loop: Header=BB2_84 Depth=1
	s_cmp_gt_u32 s55, 12
	s_mov_b64 s[0:1], -1
	s_cbranch_scc0 .LBB2_693
; %bb.684:                              ;   in Loop: Header=BB2_84 Depth=1
	v_cmp_lt_i16_e64 s[2:3], s55, 14
	s_and_b64 vcc, exec, s[2:3]
	s_cbranch_vccnz .LBB2_690
; %bb.685:                              ;   in Loop: Header=BB2_84 Depth=1
	v_cmp_ne_u16_e64 s[2:3], s55, 14
	s_and_b64 vcc, exec, s[2:3]
	s_cbranch_vccz .LBB2_687
; %bb.686:                              ;   in Loop: Header=BB2_84 Depth=1
	s_add_u32 s8, s36, 0x1000
	s_addc_u32 s9, s37, 0
	s_mov_b64 s[4:5], s[38:39]
	s_mov_b64 s[10:11], s[34:35]
	s_mov_b32 s12, s45
	s_mov_b32 s13, s44
	;; [unrolled: 1-line block ×3, first 2 shown]
	v_mov_b32_e32 v31, v40
	s_getpc_b64 s[0:1]
	s_add_u32 s0, s0, _Z45ncclDevFunc_Reduce_RING_SIMPLE_Prod_u64_0_0_4v@rel32@lo+4
	s_addc_u32 s1, s1, _Z45ncclDevFunc_Reduce_RING_SIMPLE_Prod_u64_0_0_4v@rel32@hi+12
	s_swappc_b64 s[30:31], s[0:1]
	s_mov_b64 s[0:1], 0
.LBB2_687:                              ;   in Loop: Header=BB2_84 Depth=1
	s_andn2_b64 vcc, exec, s[0:1]
	s_cbranch_vccnz .LBB2_689
; %bb.688:                              ;   in Loop: Header=BB2_84 Depth=1
	s_add_u32 s8, s36, 0x1000
	s_addc_u32 s9, s37, 0
	s_mov_b64 s[4:5], s[38:39]
	s_mov_b64 s[10:11], s[34:35]
	s_mov_b32 s12, s45
	s_mov_b32 s13, s44
	;; [unrolled: 1-line block ×3, first 2 shown]
	v_mov_b32_e32 v31, v40
	s_getpc_b64 s[0:1]
	s_add_u32 s0, s0, _Z45ncclDevFunc_Reduce_RING_SIMPLE_Prod_u32_0_0_4v@rel32@lo+4
	s_addc_u32 s1, s1, _Z45ncclDevFunc_Reduce_RING_SIMPLE_Prod_u32_0_0_4v@rel32@hi+12
	s_swappc_b64 s[30:31], s[0:1]
.LBB2_689:                              ;   in Loop: Header=BB2_84 Depth=1
	s_mov_b64 s[0:1], 0
.LBB2_690:                              ;   in Loop: Header=BB2_84 Depth=1
	s_andn2_b64 vcc, exec, s[0:1]
	s_cbranch_vccnz .LBB2_692
; %bb.691:                              ;   in Loop: Header=BB2_84 Depth=1
	s_add_u32 s8, s36, 0x1000
	s_addc_u32 s9, s37, 0
	s_mov_b64 s[4:5], s[38:39]
	s_mov_b64 s[10:11], s[34:35]
	s_mov_b32 s12, s45
	s_mov_b32 s13, s44
	;; [unrolled: 1-line block ×3, first 2 shown]
	v_mov_b32_e32 v31, v40
	s_getpc_b64 s[0:1]
	s_add_u32 s0, s0, _Z44ncclDevFunc_Reduce_RING_SIMPLE_Prod_u8_0_0_4v@rel32@lo+4
	s_addc_u32 s1, s1, _Z44ncclDevFunc_Reduce_RING_SIMPLE_Prod_u8_0_0_4v@rel32@hi+12
	s_swappc_b64 s[30:31], s[0:1]
.LBB2_692:                              ;   in Loop: Header=BB2_84 Depth=1
	s_mov_b64 s[0:1], 0
.LBB2_693:                              ;   in Loop: Header=BB2_84 Depth=1
	s_and_b64 vcc, exec, s[0:1]
	s_cbranch_vccz .LBB2_698
; %bb.694:                              ;   in Loop: Header=BB2_84 Depth=1
	s_cmp_eq_u32 s55, 12
	s_mov_b64 s[0:1], -1
	s_cbranch_scc1 .LBB2_696
; %bb.695:                              ;   in Loop: Header=BB2_84 Depth=1
	s_add_u32 s8, s36, 0x1000
	s_addc_u32 s9, s37, 0
	s_mov_b64 s[4:5], s[38:39]
	s_mov_b64 s[10:11], s[34:35]
	s_mov_b32 s12, s45
	s_mov_b32 s13, s44
	s_mov_b32 s14, s33
	v_mov_b32_e32 v31, v40
	s_getpc_b64 s[0:1]
	s_add_u32 s0, s0, _Z47ncclDevFunc_Reduce_RING_SIMPLE_Sum_f8e4m3_0_0_4v@rel32@lo+4
	s_addc_u32 s1, s1, _Z47ncclDevFunc_Reduce_RING_SIMPLE_Sum_f8e4m3_0_0_4v@rel32@hi+12
	s_swappc_b64 s[30:31], s[0:1]
	s_mov_b64 s[0:1], 0
.LBB2_696:                              ;   in Loop: Header=BB2_84 Depth=1
	s_andn2_b64 vcc, exec, s[0:1]
	s_cbranch_vccnz .LBB2_698
; %bb.697:                              ;   in Loop: Header=BB2_84 Depth=1
	s_add_u32 s8, s36, 0x1000
	s_addc_u32 s9, s37, 0
	s_mov_b64 s[4:5], s[38:39]
	s_mov_b64 s[10:11], s[34:35]
	s_mov_b32 s12, s45
	s_mov_b32 s13, s44
	;; [unrolled: 1-line block ×3, first 2 shown]
	v_mov_b32_e32 v31, v40
	s_getpc_b64 s[0:1]
	s_add_u32 s0, s0, _Z47ncclDevFunc_Reduce_RING_SIMPLE_Sum_f8e5m2_0_0_4v@rel32@lo+4
	s_addc_u32 s1, s1, _Z47ncclDevFunc_Reduce_RING_SIMPLE_Sum_f8e5m2_0_0_4v@rel32@hi+12
	s_swappc_b64 s[30:31], s[0:1]
.LBB2_698:                              ;   in Loop: Header=BB2_84 Depth=1
	s_mov_b64 s[0:1], 0
.LBB2_699:                              ;   in Loop: Header=BB2_84 Depth=1
	s_andn2_b64 vcc, exec, s[0:1]
	s_cbranch_vccnz .LBB2_734
; %bb.700:                              ;   in Loop: Header=BB2_84 Depth=1
	s_cmp_gt_u32 s55, 4
	s_mov_b64 s[0:1], -1
	s_cbranch_scc0 .LBB2_721
; %bb.701:                              ;   in Loop: Header=BB2_84 Depth=1
	s_cmp_gt_u32 s55, 7
	s_cbranch_scc0 .LBB2_711
; %bb.702:                              ;   in Loop: Header=BB2_84 Depth=1
	v_cmp_lt_i16_e64 s[2:3], s55, 9
	s_and_b64 vcc, exec, s[2:3]
	s_cbranch_vccnz .LBB2_708
; %bb.703:                              ;   in Loop: Header=BB2_84 Depth=1
	v_cmp_ne_u16_e64 s[2:3], s55, 9
	s_and_b64 vcc, exec, s[2:3]
	s_cbranch_vccz .LBB2_705
; %bb.704:                              ;   in Loop: Header=BB2_84 Depth=1
	s_add_u32 s8, s36, 0x1000
	s_addc_u32 s9, s37, 0
	s_mov_b64 s[4:5], s[38:39]
	s_mov_b64 s[10:11], s[34:35]
	s_mov_b32 s12, s45
	s_mov_b32 s13, s44
	;; [unrolled: 1-line block ×3, first 2 shown]
	v_mov_b32_e32 v31, v40
	s_getpc_b64 s[0:1]
	s_add_u32 s0, s0, _Z45ncclDevFunc_Reduce_RING_SIMPLE_Sum_bf16_0_1_4v@rel32@lo+4
	s_addc_u32 s1, s1, _Z45ncclDevFunc_Reduce_RING_SIMPLE_Sum_bf16_0_1_4v@rel32@hi+12
	s_swappc_b64 s[30:31], s[0:1]
	s_mov_b64 s[0:1], 0
.LBB2_705:                              ;   in Loop: Header=BB2_84 Depth=1
	s_andn2_b64 vcc, exec, s[0:1]
	s_cbranch_vccnz .LBB2_707
; %bb.706:                              ;   in Loop: Header=BB2_84 Depth=1
	s_add_u32 s8, s36, 0x1000
	s_addc_u32 s9, s37, 0
	s_mov_b64 s[4:5], s[38:39]
	s_mov_b64 s[10:11], s[34:35]
	s_mov_b32 s12, s45
	s_mov_b32 s13, s44
	;; [unrolled: 1-line block ×3, first 2 shown]
	v_mov_b32_e32 v31, v40
	s_getpc_b64 s[0:1]
	s_add_u32 s0, s0, _Z45ncclDevFunc_Reduce_RING_SIMPLE_Sum_bf16_0_0_4v@rel32@lo+4
	s_addc_u32 s1, s1, _Z45ncclDevFunc_Reduce_RING_SIMPLE_Sum_bf16_0_0_4v@rel32@hi+12
	s_swappc_b64 s[30:31], s[0:1]
.LBB2_707:                              ;   in Loop: Header=BB2_84 Depth=1
	s_mov_b64 s[0:1], 0
.LBB2_708:                              ;   in Loop: Header=BB2_84 Depth=1
	s_andn2_b64 vcc, exec, s[0:1]
	s_cbranch_vccnz .LBB2_710
; %bb.709:                              ;   in Loop: Header=BB2_84 Depth=1
	s_add_u32 s8, s36, 0x1000
	s_addc_u32 s9, s37, 0
	s_mov_b64 s[4:5], s[38:39]
	s_mov_b64 s[10:11], s[34:35]
	s_mov_b32 s12, s45
	s_mov_b32 s13, s44
	;; [unrolled: 1-line block ×3, first 2 shown]
	v_mov_b32_e32 v31, v40
	s_getpc_b64 s[0:1]
	s_add_u32 s0, s0, _Z44ncclDevFunc_Reduce_RING_SIMPLE_Sum_f64_0_0_4v@rel32@lo+4
	s_addc_u32 s1, s1, _Z44ncclDevFunc_Reduce_RING_SIMPLE_Sum_f64_0_0_4v@rel32@hi+12
	s_swappc_b64 s[30:31], s[0:1]
.LBB2_710:                              ;   in Loop: Header=BB2_84 Depth=1
	s_mov_b64 s[0:1], 0
.LBB2_711:                              ;   in Loop: Header=BB2_84 Depth=1
	s_and_b64 vcc, exec, s[0:1]
	s_cbranch_vccz .LBB2_720
; %bb.712:                              ;   in Loop: Header=BB2_84 Depth=1
	v_cmp_lt_i16_e64 s[2:3], s55, 6
	s_mov_b64 s[0:1], -1
	s_and_b64 vcc, exec, s[2:3]
	s_cbranch_vccnz .LBB2_718
; %bb.713:                              ;   in Loop: Header=BB2_84 Depth=1
	v_cmp_ne_u16_e64 s[2:3], s55, 6
	s_and_b64 vcc, exec, s[2:3]
	s_cbranch_vccz .LBB2_715
; %bb.714:                              ;   in Loop: Header=BB2_84 Depth=1
	s_add_u32 s8, s36, 0x1000
	s_addc_u32 s9, s37, 0
	s_mov_b64 s[4:5], s[38:39]
	s_mov_b64 s[10:11], s[34:35]
	s_mov_b32 s12, s45
	s_mov_b32 s13, s44
	;; [unrolled: 1-line block ×3, first 2 shown]
	v_mov_b32_e32 v31, v40
	s_getpc_b64 s[0:1]
	s_add_u32 s0, s0, _Z44ncclDevFunc_Reduce_RING_SIMPLE_Sum_f32_0_0_4v@rel32@lo+4
	s_addc_u32 s1, s1, _Z44ncclDevFunc_Reduce_RING_SIMPLE_Sum_f32_0_0_4v@rel32@hi+12
	s_swappc_b64 s[30:31], s[0:1]
	s_mov_b64 s[0:1], 0
.LBB2_715:                              ;   in Loop: Header=BB2_84 Depth=1
	s_andn2_b64 vcc, exec, s[0:1]
	s_cbranch_vccnz .LBB2_717
; %bb.716:                              ;   in Loop: Header=BB2_84 Depth=1
	s_add_u32 s8, s36, 0x1000
	s_addc_u32 s9, s37, 0
	s_mov_b64 s[4:5], s[38:39]
	s_mov_b64 s[10:11], s[34:35]
	s_mov_b32 s12, s45
	s_mov_b32 s13, s44
	;; [unrolled: 1-line block ×3, first 2 shown]
	v_mov_b32_e32 v31, v40
	s_getpc_b64 s[0:1]
	s_add_u32 s0, s0, _Z44ncclDevFunc_Reduce_RING_SIMPLE_Sum_f16_0_0_4v@rel32@lo+4
	s_addc_u32 s1, s1, _Z44ncclDevFunc_Reduce_RING_SIMPLE_Sum_f16_0_0_4v@rel32@hi+12
	s_swappc_b64 s[30:31], s[0:1]
.LBB2_717:                              ;   in Loop: Header=BB2_84 Depth=1
	s_mov_b64 s[0:1], 0
.LBB2_718:                              ;   in Loop: Header=BB2_84 Depth=1
	s_andn2_b64 vcc, exec, s[0:1]
	s_cbranch_vccnz .LBB2_720
; %bb.719:                              ;   in Loop: Header=BB2_84 Depth=1
	s_add_u32 s8, s36, 0x1000
	s_addc_u32 s9, s37, 0
	s_mov_b64 s[4:5], s[38:39]
	s_mov_b64 s[10:11], s[34:35]
	s_mov_b32 s12, s45
	s_mov_b32 s13, s44
	;; [unrolled: 1-line block ×3, first 2 shown]
	v_mov_b32_e32 v31, v40
	s_getpc_b64 s[0:1]
	s_add_u32 s0, s0, _Z44ncclDevFunc_Reduce_RING_SIMPLE_Sum_u64_0_0_4v@rel32@lo+4
	s_addc_u32 s1, s1, _Z44ncclDevFunc_Reduce_RING_SIMPLE_Sum_u64_0_0_4v@rel32@hi+12
	s_swappc_b64 s[30:31], s[0:1]
.LBB2_720:                              ;   in Loop: Header=BB2_84 Depth=1
	s_mov_b64 s[0:1], 0
.LBB2_721:                              ;   in Loop: Header=BB2_84 Depth=1
	s_andn2_b64 vcc, exec, s[0:1]
	s_cbranch_vccnz .LBB2_734
; %bb.722:                              ;   in Loop: Header=BB2_84 Depth=1
	s_cmp_gt_u32 s55, 1
	s_mov_b64 s[0:1], -1
	s_cbranch_scc0 .LBB2_732
; %bb.723:                              ;   in Loop: Header=BB2_84 Depth=1
	v_cmp_lt_i16_e64 s[2:3], s55, 3
	s_and_b64 vcc, exec, s[2:3]
	s_cbranch_vccnz .LBB2_729
; %bb.724:                              ;   in Loop: Header=BB2_84 Depth=1
	v_cmp_ne_u16_e64 s[2:3], s55, 3
	s_and_b64 vcc, exec, s[2:3]
	s_cbranch_vccz .LBB2_726
; %bb.725:                              ;   in Loop: Header=BB2_84 Depth=1
	s_add_u32 s8, s36, 0x1000
	s_addc_u32 s9, s37, 0
	s_mov_b64 s[4:5], s[38:39]
	s_mov_b64 s[10:11], s[34:35]
	s_mov_b32 s12, s45
	s_mov_b32 s13, s44
	;; [unrolled: 1-line block ×3, first 2 shown]
	v_mov_b32_e32 v31, v40
	s_getpc_b64 s[0:1]
	s_add_u32 s0, s0, _Z44ncclDevFunc_Reduce_RING_SIMPLE_Sum_u32_0_0_4v@rel32@lo+4
	s_addc_u32 s1, s1, _Z44ncclDevFunc_Reduce_RING_SIMPLE_Sum_u32_0_0_4v@rel32@hi+12
	s_swappc_b64 s[30:31], s[0:1]
	s_mov_b64 s[0:1], 0
.LBB2_726:                              ;   in Loop: Header=BB2_84 Depth=1
	s_andn2_b64 vcc, exec, s[0:1]
	s_cbranch_vccnz .LBB2_728
; %bb.727:                              ;   in Loop: Header=BB2_84 Depth=1
	s_add_u32 s8, s36, 0x1000
	s_addc_u32 s9, s37, 0
	s_mov_b64 s[4:5], s[38:39]
	s_mov_b64 s[10:11], s[34:35]
	s_mov_b32 s12, s45
	s_mov_b32 s13, s44
	;; [unrolled: 1-line block ×3, first 2 shown]
	v_mov_b32_e32 v31, v40
	s_getpc_b64 s[0:1]
	s_add_u32 s0, s0, _Z43ncclDevFunc_Reduce_RING_SIMPLE_Sum_u8_0_0_4v@rel32@lo+4
	s_addc_u32 s1, s1, _Z43ncclDevFunc_Reduce_RING_SIMPLE_Sum_u8_0_0_4v@rel32@hi+12
	s_swappc_b64 s[30:31], s[0:1]
.LBB2_728:                              ;   in Loop: Header=BB2_84 Depth=1
	s_mov_b64 s[0:1], 0
.LBB2_729:                              ;   in Loop: Header=BB2_84 Depth=1
	s_andn2_b64 vcc, exec, s[0:1]
	s_cbranch_vccnz .LBB2_731
; %bb.730:                              ;   in Loop: Header=BB2_84 Depth=1
	s_add_u32 s8, s36, 0x1000
	s_addc_u32 s9, s37, 0
	s_mov_b64 s[4:5], s[38:39]
	s_mov_b64 s[10:11], s[34:35]
	s_mov_b32 s12, s45
	s_mov_b32 s13, s44
	;; [unrolled: 1-line block ×3, first 2 shown]
	v_mov_b32_e32 v31, v40
	s_getpc_b64 s[0:1]
	s_add_u32 s0, s0, _Z46ncclDevFunc_Broadcast_RING_SIMPLE_Sum_i8_0_0_4v@rel32@lo+4
	s_addc_u32 s1, s1, _Z46ncclDevFunc_Broadcast_RING_SIMPLE_Sum_i8_0_0_4v@rel32@hi+12
	s_swappc_b64 s[30:31], s[0:1]
.LBB2_731:                              ;   in Loop: Header=BB2_84 Depth=1
	s_mov_b64 s[0:1], 0
.LBB2_732:                              ;   in Loop: Header=BB2_84 Depth=1
	s_and_b64 vcc, exec, s[0:1]
	s_cbranch_vccz .LBB2_734
; %bb.733:                              ;   in Loop: Header=BB2_84 Depth=1
	s_add_u32 s8, s36, 0x1000
	s_addc_u32 s9, s37, 0
	s_mov_b64 s[4:5], s[38:39]
	s_mov_b64 s[10:11], s[34:35]
	s_mov_b32 s12, s45
	s_mov_b32 s13, s44
	;; [unrolled: 1-line block ×3, first 2 shown]
	v_mov_b32_e32 v31, v40
	s_getpc_b64 s[0:1]
	s_add_u32 s0, s0, _Z42ncclDevFunc_Broadcast_RING_LL_Sum_i8_0_0_4v@rel32@lo+4
	s_addc_u32 s1, s1, _Z42ncclDevFunc_Broadcast_RING_LL_Sum_i8_0_0_4v@rel32@hi+12
	s_swappc_b64 s[30:31], s[0:1]
.LBB2_734:                              ;   in Loop: Header=BB2_84 Depth=1
	ds_read_b32 v0, v43 offset:16996
	s_waitcnt lgkmcnt(0)
	v_cmp_eq_u32_e32 vcc, -1, v0
	v_readfirstlane_b32 s8, v0
	s_cbranch_vccnz .LBB2_749
; %bb.735:                              ;   in Loop: Header=BB2_84 Depth=1
	s_barrier
	s_and_saveexec_b64 s[0:1], s[46:47]
	s_cbranch_execz .LBB2_739
; %bb.736:                              ;   in Loop: Header=BB2_84 Depth=1
	s_and_saveexec_b64 s[2:3], s[42:43]
	s_cbranch_execz .LBB2_738
; %bb.737:                              ;   in Loop: Header=BB2_84 Depth=1
	v_mov_b32_e32 v42, v43
	ds_write_b64 v43, v[42:43] offset:19736
.LBB2_738:                              ;   in Loop: Header=BB2_84 Depth=1
	s_or_b64 exec, exec, s[2:3]
	v_mov_b32_e32 v42, v43
	ds_write_b64 v41, v[42:43]
.LBB2_739:                              ;   in Loop: Header=BB2_84 Depth=1
	s_or_b64 exec, exec, s[0:1]
	s_and_saveexec_b64 s[0:1], s[40:41]
	s_cbranch_execz .LBB2_751
; %bb.740:                              ;   in Loop: Header=BB2_84 Depth=1
	ds_read_b64 v[2:3], v43 offset:16976
	ds_read_b32 v4, v43 offset:17004
	s_waitcnt lgkmcnt(0)
	v_lshl_add_u64 v[0:1], v[2:3], 0, 1
	v_ashrrev_i32_e32 v5, 31, v4
	v_lshl_add_u64 v[6:7], v[2:3], 0, v[4:5]
	v_cmp_gt_u64_e32 vcc, v[0:1], v[6:7]
	s_cbranch_vccnz .LBB2_750
; %bb.741:                              ;   in Loop: Header=BB2_84 Depth=1
	ds_read_u8 v8, v43 offset:17000
	s_movk_i32 s4, 0x494e
	s_movk_i32 s5, 0x491a
	s_branch .LBB2_743
.LBB2_742:                              ;   in Loop: Header=BB2_743 Depth=2
	s_waitcnt lgkmcnt(0)
	v_ashrrev_i32_e32 v5, 31, v4
	v_lshl_add_u64 v[0:1], v[0:1], 0, 1
	v_lshl_add_u64 v[6:7], v[2:3], 0, v[4:5]
	v_cmp_le_u64_e32 vcc, v[0:1], v[6:7]
	s_add_i32 s4, s4, 64
	s_addk_i32 s5, 0x80
	s_cbranch_vccz .LBB2_750
.LBB2_743:                              ;   Parent Loop BB2_84 Depth=1
                                        ; =>  This Inner Loop Header: Depth=2
	s_waitcnt lgkmcnt(0)
	v_cmp_ne_u16_sdwa s[2:3], v8, v43 src0_sel:BYTE_0 src1_sel:DWORD
	s_and_b64 vcc, exec, s[2:3]
	s_cbranch_vccz .LBB2_748
; %bb.744:                              ;   in Loop: Header=BB2_743 Depth=2
	v_mov_b32_e32 v5, s5
	ds_read_u8 v5, v5
	s_waitcnt lgkmcnt(0)
	v_and_b32_e32 v5, 1, v5
	s_cbranch_execnz .LBB2_746
.LBB2_745:                              ;   in Loop: Header=BB2_743 Depth=2
	v_mov_b32_e32 v5, s4
	ds_read_u16 v5, v5
	s_waitcnt lgkmcnt(0)
	v_bfe_u32 v5, v5, 6, 1
.LBB2_746:                              ;   in Loop: Header=BB2_743 Depth=2
	v_cmp_eq_u32_e32 vcc, 0, v5
	s_cbranch_vccnz .LBB2_742
; %bb.747:                              ;   in Loop: Header=BB2_743 Depth=2
	s_memrealtime s[2:3]
	ds_read_u8 v8, v43 offset:17000
	ds_read_b32 v2, v43 offset:16496
	ds_read_b64 v[4:5], v43 offset:16600
	v_and_b32_e32 v6, 63, v0
	v_lshlrev_b32_e32 v42, 4, v6
	s_waitcnt lgkmcnt(0)
	v_ashrrev_i32_e32 v3, 31, v2
	v_lshlrev_b64 v[2:3], 10, v[2:3]
	v_lshl_add_u64 v[2:3], v[4:5], 0, v[2:3]
	v_lshl_add_u64 v[4:5], v[2:3], 0, v[42:43]
	v_mov_b32_e32 v2, s2
	v_mov_b32_e32 v3, s3
	flat_store_dwordx4 v[4:5], v[0:3]
	ds_read_b64 v[2:3], v43 offset:16976
	ds_read_b32 v4, v43 offset:17004
	s_branch .LBB2_742
.LBB2_748:                              ;   in Loop: Header=BB2_743 Depth=2
                                        ; implicit-def: $vgpr5
	s_branch .LBB2_745
.LBB2_749:                              ;   in Loop: Header=BB2_84 Depth=1
	s_cbranch_execz .LBB2_84
	s_branch .LBB2_70
.LBB2_750:                              ;   in Loop: Header=BB2_84 Depth=1
	ds_write_b64 v43, v[6:7] offset:16976
.LBB2_751:                              ;   in Loop: Header=BB2_84 Depth=1
	s_or_b64 exec, exec, s[0:1]
	s_mov_b32 s10, 0
	v_mov_b32_e32 v9, v56
                                        ; implicit-def: $vgpr0_vgpr1_vgpr2_vgpr3
	s_branch .LBB2_754
.LBB2_752:                              ;   in Loop: Header=BB2_754 Depth=2
	s_or_b64 exec, exec, s[6:7]
	s_mov_b32 s5, s8
	v_mov_b32_e32 v4, v9
.LBB2_753:                              ;   in Loop: Header=BB2_754 Depth=2
	s_andn2_b64 vcc, exec, s[2:3]
	s_mov_b32 s8, s5
	v_mov_b32_e32 v9, v4
	s_cbranch_vccz .LBB2_83
.LBB2_754:                              ;   Parent Loop BB2_84 Depth=1
                                        ; =>  This Inner Loop Header: Depth=2
	s_ashr_i32 s9, s8, 31
	s_lshl_b64 s[0:1], s[8:9], 4
	s_add_u32 s0, s51, s0
	s_addc_u32 s1, s52, s1
	s_load_dwordx4 s[4:7], s[0:1], 0x0
	s_waitcnt lgkmcnt(0)
	v_and_b32_e32 v5, s7, v45
	v_and_b32_e32 v4, s6, v44
	v_cmp_ne_u64_e32 vcc, 0, v[4:5]
	s_and_saveexec_b64 s[0:1], vcc
	s_cbranch_execz .LBB2_756
; %bb.755:                              ;   in Loop: Header=BB2_754 Depth=2
	v_and_b32_e32 v5, s6, v46
	v_and_b32_e32 v4, s7, v47
	v_bcnt_u32_b32 v5, v5, 0
	v_bcnt_u32_b32 v4, v4, v5
	v_add_u32_e32 v4, v57, v4
	ds_write_b8 v4, v56
.LBB2_756:                              ;   in Loop: Header=BB2_754 Depth=2
	s_or_b64 exec, exec, s[0:1]
	s_bcnt1_i32_b64 s11, s[6:7]
	s_bfe_u32 s9, s4, 0x2000f
	s_cmp_lt_i32 s9, 1
	s_cbranch_scc1 .LBB2_759
; %bb.757:                              ;   in Loop: Header=BB2_754 Depth=2
	s_cmp_lg_u32 s9, 1
	s_cbranch_scc0 .LBB2_760
; %bb.758:                              ;   in Loop: Header=BB2_754 Depth=2
	s_mov_b32 s13, 20
	v_mul_u32_u24_e64 v4, s11, 20
	s_movk_i32 s12, 0x140
	s_cbranch_execz .LBB2_761
	s_branch .LBB2_762
.LBB2_759:                              ;   in Loop: Header=BB2_754 Depth=2
                                        ; implicit-def: $vgpr4
                                        ; implicit-def: $sgpr12
                                        ; implicit-def: $sgpr13
	s_branch .LBB2_763
.LBB2_760:                              ;   in Loop: Header=BB2_754 Depth=2
                                        ; implicit-def: $vgpr4
                                        ; implicit-def: $sgpr12
                                        ; implicit-def: $sgpr13
.LBB2_761:                              ;   in Loop: Header=BB2_754 Depth=2
	s_lshl_b32 s0, s11, 3
	s_mov_b32 s13, 8
	s_movk_i32 s12, 0x80
	v_mov_b32_e32 v4, s0
.LBB2_762:                              ;   in Loop: Header=BB2_754 Depth=2
	s_cbranch_execnz .LBB2_764
.LBB2_763:                              ;   in Loop: Header=BB2_754 Depth=2
	s_lshl_b32 s0, s11, 2
	s_mov_b32 s12, 64
	s_mov_b32 s13, 4
	v_mov_b32_e32 v4, s0
.LBB2_764:                              ;   in Loop: Header=BB2_754 Depth=2
	v_cmp_eq_u32_e64 s[0:1], 0, v9
	s_and_saveexec_b64 s[2:3], s[0:1]
	s_cbranch_execz .LBB2_766
; %bb.765:                              ;   in Loop: Header=BB2_754 Depth=2
	v_mov_b32_e32 v5, s12
	ds_write_b32 v43, v5 offset:17008
	s_or_b64 exec, exec, s[2:3]
	v_cmp_lt_i32_e32 vcc, v9, v4
	s_and_saveexec_b64 s[6:7], vcc
	s_cbranch_execz .LBB2_774
	s_branch .LBB2_767
.LBB2_766:                              ;   in Loop: Header=BB2_754 Depth=2
	s_or_b64 exec, exec, s[2:3]
	v_cmp_lt_i32_e32 vcc, v9, v4
	s_and_saveexec_b64 s[6:7], vcc
	s_cbranch_execz .LBB2_774
.LBB2_767:                              ;   in Loop: Header=BB2_754 Depth=2
	v_cvt_f32_u32_e32 v4, s13
	s_sub_i32 s2, 0, s13
	v_sub_u32_e32 v6, 0, v9
	v_max_i32_e32 v6, v9, v6
	v_rcp_iflag_f32_e32 v4, v4
	v_ashrrev_i32_e32 v5, 31, v9
	v_mul_f32_e32 v4, 0x4f7ffffe, v4
	v_cvt_u32_f32_e32 v4, v4
	v_mul_lo_u32 v7, s2, v4
	v_mul_hi_u32 v7, v4, v7
	v_add_u32_e32 v4, v4, v7
	v_mul_hi_u32 v4, v6, v4
	v_mul_lo_u32 v7, v4, s13
	v_sub_u32_e32 v6, v6, v7
	v_add_u32_e32 v8, 1, v4
	v_cmp_le_u32_e32 vcc, s13, v6
	v_subrev_u32_e32 v7, s13, v6
	s_nop 0
	v_cndmask_b32_e32 v4, v4, v8, vcc
	v_cndmask_b32_e32 v6, v6, v7, vcc
	v_add_u32_e32 v7, 1, v4
	v_cmp_le_u32_e32 vcc, s13, v6
	ds_read_u8 v6, v43 offset:16472
	s_nop 0
	v_cndmask_b32_e32 v4, v4, v7, vcc
	v_xor_b32_e32 v4, v4, v5
	v_sub_u32_e32 v10, v4, v5
	v_add_u32_e32 v4, v57, v10
	ds_read_u8 v4, v4
	v_mul_lo_u32 v5, v10, s13
	v_sub_u32_e32 v5, v9, v5
	s_waitcnt lgkmcnt(0)
	v_cmp_ne_u16_e64 s[2:3], 0, v6
	s_and_b64 vcc, exec, s[2:3]
	v_lshlrev_b32_e32 v11, 4, v5
	s_cbranch_vccz .LBB2_770
; %bb.768:                              ;   in Loop: Header=BB2_754 Depth=2
	s_and_b64 vcc, exec, s[2:3]
	s_cbranch_vccz .LBB2_771
.LBB2_769:                              ;   in Loop: Header=BB2_754 Depth=2
	ds_read_b32 v12, v43 offset:16476
	ds_read_b64 v[6:7], v43 offset:16480
	v_mul_u32_u24_e32 v4, s12, v4
	v_lshlrev_b32_e32 v8, 4, v5
	v_add3_u32 v4, v8, s5, v4
	s_waitcnt lgkmcnt(0)
	v_and_b32_e32 v42, v12, v4
	v_lshl_add_u64 v[4:5], v[6:7], 0, v[42:43]
	flat_load_dwordx4 v[4:7], v[4:5]
	s_cbranch_execz .LBB2_772
	s_branch .LBB2_773
.LBB2_770:                              ;   in Loop: Header=BB2_754 Depth=2
	v_mul_u32_u24_e32 v0, s12, v4
	v_lshlrev_b32_e32 v1, 4, v5
	v_add3_u32 v0, v1, s5, v0
	global_load_dwordx4 v[0:3], v0, s[36:37]
	s_and_b64 vcc, exec, s[2:3]
	s_cbranch_vccnz .LBB2_769
.LBB2_771:                              ;   in Loop: Header=BB2_754 Depth=2
                                        ; implicit-def: $vgpr4_vgpr5_vgpr6_vgpr7
                                        ; implicit-def: $vgpr8
.LBB2_772:                              ;   in Loop: Header=BB2_754 Depth=2
	s_waitcnt vmcnt(0) lgkmcnt(0)
	v_mov_b64_e32 v[6:7], v[2:3]
	v_mov_b32_e32 v8, v11
	v_mov_b64_e32 v[4:5], v[0:1]
.LBB2_773:                              ;   in Loop: Header=BB2_754 Depth=2
	s_waitcnt vmcnt(0)
	v_add_u32_e32 v0, s10, v10
	v_mad_u64_u32 v[0:1], s[2:3], v0, s12, v[8:9]
	s_waitcnt lgkmcnt(0)
	ds_write_b128 v0, v[4:7] offset:18704
	v_mov_b64_e32 v[0:1], v[4:5]
	v_mov_b64_e32 v[2:3], v[6:7]
.LBB2_774:                              ;   in Loop: Header=BB2_754 Depth=2
	s_or_b64 exec, exec, s[6:7]
	s_bitcmp0_b32 s4, 14
	s_cselect_b64 s[2:3], -1, 0
	s_and_b64 vcc, exec, s[2:3]
	s_cbranch_vccnz .LBB2_776
; %bb.775:                              ;   in Loop: Header=BB2_754 Depth=2
	v_mov_b32_e32 v4, s50
	v_cmp_gt_i32_e32 vcc, 64, v9
	s_and_b32 s5, s4, 0x3fff
	s_add_i32 s5, s5, s8
	v_cndmask_b32_e32 v4, 0, v4, vcc
	v_add3_u32 v4, v9, v4, s54
	s_add_i32 s10, s10, s11
	s_cbranch_execnz .LBB2_753
	s_branch .LBB2_777
.LBB2_776:                              ;   in Loop: Header=BB2_754 Depth=2
                                        ; implicit-def: $vgpr4
                                        ; implicit-def: $sgpr5
	s_add_i32 s10, s10, s11
.LBB2_777:                              ;   in Loop: Header=BB2_754 Depth=2
	s_and_saveexec_b64 s[6:7], s[0:1]
	s_cbranch_execz .LBB2_752
; %bb.778:                              ;   in Loop: Header=BB2_754 Depth=2
	s_and_b32 s0, s4, 0x3fff
	s_add_i32 s1, s0, s8
	s_cmp_lg_u32 s0, 0
	s_cselect_b32 s0, s1, -1
	v_mov_b32_e32 v4, s8
	v_mov_b32_e32 v5, s0
	ds_write_b64 v43, v[4:5] offset:16992
	v_mov_b32_e32 v4, s9
	ds_write_b8 v43, v4 offset:17000
	v_mov_b32_e32 v4, s10
	s_lshr_b32 s0, s4, 17
	ds_write_b32 v43, v4 offset:17004
	v_mov_b32_e32 v4, s0
	v_mov_b32_e32 v9, 0
	ds_write_b16 v43, v4 offset:17002
	s_branch .LBB2_752
	.section	.rodata,"a",@progbits
	.p2align	6, 0x0
	.amdhsa_kernel _Z23ncclDevKernel_Generic_424ncclDevKernelArgsStorageILm4096EE
		.amdhsa_group_segment_fixed_size 19744
		.amdhsa_private_segment_fixed_size 0
		.amdhsa_kernarg_size 4352
		.amdhsa_user_sgpr_count 6
		.amdhsa_user_sgpr_dispatch_ptr 1
		.amdhsa_user_sgpr_queue_ptr 0
		.amdhsa_user_sgpr_kernarg_segment_ptr 1
		.amdhsa_user_sgpr_dispatch_id 1
		.amdhsa_user_sgpr_kernarg_preload_length 0
		.amdhsa_user_sgpr_kernarg_preload_offset 0
		.amdhsa_user_sgpr_private_segment_size 0
		.amdhsa_uses_dynamic_stack 1
		.amdhsa_enable_private_segment 1
		.amdhsa_system_sgpr_workgroup_id_x 1
		.amdhsa_system_sgpr_workgroup_id_y 1
		.amdhsa_system_sgpr_workgroup_id_z 1
		.amdhsa_system_sgpr_workgroup_info 0
		.amdhsa_system_vgpr_workitem_id 2
		.amdhsa_next_free_vgpr 94
		.amdhsa_next_free_sgpr 56
		.amdhsa_accum_offset 96
		.amdhsa_reserve_vcc 1
		.amdhsa_float_round_mode_32 0
		.amdhsa_float_round_mode_16_64 0
		.amdhsa_float_denorm_mode_32 3
		.amdhsa_float_denorm_mode_16_64 3
		.amdhsa_dx10_clamp 1
		.amdhsa_ieee_mode 1
		.amdhsa_fp16_overflow 0
		.amdhsa_tg_split 0
		.amdhsa_exception_fp_ieee_invalid_op 0
		.amdhsa_exception_fp_denorm_src 0
		.amdhsa_exception_fp_ieee_div_zero 0
		.amdhsa_exception_fp_ieee_overflow 0
		.amdhsa_exception_fp_ieee_underflow 0
		.amdhsa_exception_fp_ieee_inexact 0
		.amdhsa_exception_int_div_zero 0
	.end_amdhsa_kernel
	.text
.Lfunc_end2:
	.size	_Z23ncclDevKernel_Generic_424ncclDevKernelArgsStorageILm4096EE, .Lfunc_end2-_Z23ncclDevKernel_Generic_424ncclDevKernelArgsStorageILm4096EE
                                        ; -- End function
	.section	.AMDGPU.csdata,"",@progbits
; Kernel info:
; codeLenInByte = 19112
; NumSgprs: 62
; NumVgprs: 94
; NumAgprs: 0
; TotalNumVgprs: 94
; ScratchSize: 0
; MemoryBound: 1
; FloatMode: 240
; IeeeMode: 1
; LDSByteSize: 19744 bytes/workgroup (compile time only)
; SGPRBlocks: 7
; VGPRBlocks: 11
; NumSGPRsForWavesPerEU: 62
; NumVGPRsForWavesPerEU: 94
; AccumOffset: 96
; Occupancy: 3
; WaveLimiterHint : 0
; COMPUTE_PGM_RSRC2:SCRATCH_EN: 1
; COMPUTE_PGM_RSRC2:USER_SGPR: 6
; COMPUTE_PGM_RSRC2:TRAP_HANDLER: 0
; COMPUTE_PGM_RSRC2:TGID_X_EN: 1
; COMPUTE_PGM_RSRC2:TGID_Y_EN: 1
; COMPUTE_PGM_RSRC2:TGID_Z_EN: 1
; COMPUTE_PGM_RSRC2:TIDIG_COMP_CNT: 2
; COMPUTE_PGM_RSRC3_GFX90A:ACCUM_OFFSET: 23
; COMPUTE_PGM_RSRC3_GFX90A:TG_SPLIT: 0
	.text
	.p2alignl 6, 3212836864
	.fill 256, 4, 3212836864
	.type	__hip_cuid_3856487731533deb,@object ; @__hip_cuid_3856487731533deb
	.section	.bss,"aw",@nobits
	.globl	__hip_cuid_3856487731533deb
__hip_cuid_3856487731533deb:
	.byte	0                               ; 0x0
	.size	__hip_cuid_3856487731533deb, 1

	.hidden	_Z42ncclDevFunc_Broadcast_RING_LL_Sum_i8_0_0_1v
	.hidden	_Z46ncclDevFunc_Broadcast_RING_SIMPLE_Sum_i8_0_0_1v
	.hidden	_Z43ncclDevFunc_Reduce_RING_SIMPLE_Sum_u8_0_0_1v
	.hidden	_Z44ncclDevFunc_Reduce_RING_SIMPLE_Sum_u32_0_0_1v
	.hidden	_Z44ncclDevFunc_Reduce_RING_SIMPLE_Sum_u64_0_0_1v
	.hidden	_Z44ncclDevFunc_Reduce_RING_SIMPLE_Sum_f16_0_0_1v
	.hidden	_Z44ncclDevFunc_Reduce_RING_SIMPLE_Sum_f32_0_0_1v
	.hidden	_Z44ncclDevFunc_Reduce_RING_SIMPLE_Sum_f64_0_0_1v
	.hidden	_Z45ncclDevFunc_Reduce_RING_SIMPLE_Sum_bf16_0_0_1v
	.hidden	_Z45ncclDevFunc_Reduce_RING_SIMPLE_Sum_bf16_0_1_1v
	.hidden	_Z47ncclDevFunc_Reduce_RING_SIMPLE_Sum_f8e4m3_0_0_1v
	.hidden	_Z47ncclDevFunc_Reduce_RING_SIMPLE_Sum_f8e5m2_0_0_1v
	.hidden	_Z44ncclDevFunc_Reduce_RING_SIMPLE_Prod_u8_0_0_1v
	.hidden	_Z45ncclDevFunc_Reduce_RING_SIMPLE_Prod_u32_0_0_1v
	.hidden	_Z45ncclDevFunc_Reduce_RING_SIMPLE_Prod_u64_0_0_1v
	.hidden	_Z45ncclDevFunc_Reduce_RING_SIMPLE_Prod_f16_0_0_1v
	.hidden	_Z45ncclDevFunc_Reduce_RING_SIMPLE_Prod_f32_0_0_1v
	.hidden	_Z45ncclDevFunc_Reduce_RING_SIMPLE_Prod_f64_0_0_1v
	.hidden	_Z46ncclDevFunc_Reduce_RING_SIMPLE_Prod_bf16_0_0_1v
	.hidden	_Z46ncclDevFunc_Reduce_RING_SIMPLE_Prod_bf16_0_1_1v
	.hidden	_Z48ncclDevFunc_Reduce_RING_SIMPLE_Prod_f8e4m3_0_0_1v
	.hidden	_Z48ncclDevFunc_Reduce_RING_SIMPLE_Prod_f8e5m2_0_0_1v
	.hidden	_Z46ncclDevFunc_Reduce_RING_SIMPLE_MinMax_u8_0_0_1v
	.hidden	_Z47ncclDevFunc_Reduce_RING_SIMPLE_MinMax_u32_0_0_1v
	.hidden	_Z47ncclDevFunc_Reduce_RING_SIMPLE_MinMax_u64_0_0_1v
	.hidden	_Z47ncclDevFunc_Reduce_RING_SIMPLE_MinMax_f16_0_0_1v
	.hidden	_Z47ncclDevFunc_Reduce_RING_SIMPLE_MinMax_f32_0_0_1v
	.hidden	_Z47ncclDevFunc_Reduce_RING_SIMPLE_MinMax_f64_0_0_1v
	.hidden	_Z48ncclDevFunc_Reduce_RING_SIMPLE_MinMax_bf16_0_0_1v
	.hidden	_Z48ncclDevFunc_Reduce_RING_SIMPLE_MinMax_bf16_0_1_1v
	.hidden	_Z50ncclDevFunc_Reduce_RING_SIMPLE_MinMax_f8e4m3_0_0_1v
	.hidden	_Z50ncclDevFunc_Reduce_RING_SIMPLE_MinMax_f8e5m2_0_0_1v
	.hidden	_Z49ncclDevFunc_Reduce_RING_SIMPLE_PreMulSum_u8_0_0_1v
	.hidden	_Z50ncclDevFunc_Reduce_RING_SIMPLE_PreMulSum_u32_0_0_1v
	.hidden	_Z50ncclDevFunc_Reduce_RING_SIMPLE_PreMulSum_u64_0_0_1v
	.hidden	_Z50ncclDevFunc_Reduce_RING_SIMPLE_PreMulSum_f16_0_0_1v
	.hidden	_Z50ncclDevFunc_Reduce_RING_SIMPLE_PreMulSum_f32_0_0_1v
	.hidden	_Z50ncclDevFunc_Reduce_RING_SIMPLE_PreMulSum_f64_0_0_1v
	.hidden	_Z51ncclDevFunc_Reduce_RING_SIMPLE_PreMulSum_bf16_0_0_1v
	.hidden	_Z51ncclDevFunc_Reduce_RING_SIMPLE_PreMulSum_bf16_0_1_1v
	.hidden	_Z53ncclDevFunc_Reduce_RING_SIMPLE_PreMulSum_f8e4m3_0_0_1v
	.hidden	_Z53ncclDevFunc_Reduce_RING_SIMPLE_PreMulSum_f8e5m2_0_0_1v
	.hidden	_Z50ncclDevFunc_Reduce_RING_SIMPLE_SumPostDiv_u8_0_0_1v
	.hidden	_Z51ncclDevFunc_Reduce_RING_SIMPLE_SumPostDiv_u32_0_0_1v
	.hidden	_Z51ncclDevFunc_Reduce_RING_SIMPLE_SumPostDiv_u64_0_0_1v
	.hidden	_Z42ncclDevFunc_AllGather_RING_LL_Sum_i8_0_0_1v
	.hidden	_Z46ncclDevFunc_AllGather_RING_SIMPLE_Sum_i8_0_0_1v
	.hidden	_Z41ncclDevFunc_AllGather_PAT_LL_Sum_i8_0_0_1v
	.hidden	_Z45ncclDevFunc_AllGather_PAT_SIMPLE_Sum_i8_0_0_1v
	.hidden	_Z46ncclDevFunc_ReduceScatter_RING_LL_Sum_u8_0_0_1v
	.hidden	_Z47ncclDevFunc_ReduceScatter_RING_LL_Sum_u32_0_0_1v
	.hidden	_Z47ncclDevFunc_ReduceScatter_RING_LL_Sum_u64_0_0_1v
	.hidden	_Z47ncclDevFunc_ReduceScatter_RING_LL_Sum_f16_0_0_1v
	.hidden	_Z47ncclDevFunc_ReduceScatter_RING_LL_Sum_f32_0_0_1v
	.hidden	_Z47ncclDevFunc_ReduceScatter_RING_LL_Sum_f64_0_0_1v
	.hidden	_Z48ncclDevFunc_ReduceScatter_RING_LL_Sum_bf16_0_0_1v
	.hidden	_Z50ncclDevFunc_ReduceScatter_RING_LL_Sum_f8e4m3_0_0_1v
	.hidden	_Z50ncclDevFunc_ReduceScatter_RING_LL_Sum_f8e5m2_0_0_1v
	.hidden	_Z47ncclDevFunc_ReduceScatter_RING_LL_Prod_u8_0_0_1v
	.hidden	_Z48ncclDevFunc_ReduceScatter_RING_LL_Prod_u32_0_0_1v
	.hidden	_Z48ncclDevFunc_ReduceScatter_RING_LL_Prod_u64_0_0_1v
	.hidden	_Z48ncclDevFunc_ReduceScatter_RING_LL_Prod_f16_0_0_1v
	.hidden	_Z48ncclDevFunc_ReduceScatter_RING_LL_Prod_f32_0_0_1v
	.hidden	_Z48ncclDevFunc_ReduceScatter_RING_LL_Prod_f64_0_0_1v
	.hidden	_Z49ncclDevFunc_ReduceScatter_RING_LL_Prod_bf16_0_0_1v
	.hidden	_Z51ncclDevFunc_ReduceScatter_RING_LL_Prod_f8e4m3_0_0_1v
	.hidden	_Z51ncclDevFunc_ReduceScatter_RING_LL_Prod_f8e5m2_0_0_1v
	.hidden	_Z49ncclDevFunc_ReduceScatter_RING_LL_MinMax_u8_0_0_1v
	.hidden	_Z50ncclDevFunc_ReduceScatter_RING_LL_MinMax_u32_0_0_1v
	.hidden	_Z50ncclDevFunc_ReduceScatter_RING_LL_MinMax_u64_0_0_1v
	.hidden	_Z50ncclDevFunc_ReduceScatter_RING_LL_MinMax_f16_0_0_1v
	.hidden	_Z50ncclDevFunc_ReduceScatter_RING_LL_MinMax_f32_0_0_1v
	.hidden	_Z50ncclDevFunc_ReduceScatter_RING_LL_MinMax_f64_0_0_1v
	.hidden	_Z51ncclDevFunc_ReduceScatter_RING_LL_MinMax_bf16_0_0_1v
	.hidden	_Z53ncclDevFunc_ReduceScatter_RING_LL_MinMax_f8e4m3_0_0_1v
	.hidden	_Z53ncclDevFunc_ReduceScatter_RING_LL_MinMax_f8e5m2_0_0_1v
	.hidden	_Z52ncclDevFunc_ReduceScatter_RING_LL_PreMulSum_u8_0_0_1v
	.hidden	_Z53ncclDevFunc_ReduceScatter_RING_LL_PreMulSum_u32_0_0_1v
	.hidden	_Z53ncclDevFunc_ReduceScatter_RING_LL_PreMulSum_u64_0_0_1v
	.hidden	_Z53ncclDevFunc_ReduceScatter_RING_LL_PreMulSum_f16_0_0_1v
	.hidden	_Z53ncclDevFunc_ReduceScatter_RING_LL_PreMulSum_f32_0_0_1v
	.hidden	_Z53ncclDevFunc_ReduceScatter_RING_LL_PreMulSum_f64_0_0_1v
	.hidden	_Z54ncclDevFunc_ReduceScatter_RING_LL_PreMulSum_bf16_0_0_1v
	.hidden	_Z56ncclDevFunc_ReduceScatter_RING_LL_PreMulSum_f8e4m3_0_0_1v
	.hidden	_Z56ncclDevFunc_ReduceScatter_RING_LL_PreMulSum_f8e5m2_0_0_1v
	.hidden	_Z53ncclDevFunc_ReduceScatter_RING_LL_SumPostDiv_u8_0_0_1v
	.hidden	_Z54ncclDevFunc_ReduceScatter_RING_LL_SumPostDiv_u32_0_0_1v
	.hidden	_Z54ncclDevFunc_ReduceScatter_RING_LL_SumPostDiv_u64_0_0_1v
	.hidden	_Z46ncclDevFunc_AllReduce_RING_SIMPLE_Sum_u8_0_0_1v
	.hidden	_Z46ncclDevFunc_AllReduce_RING_SIMPLE_Sum_u8_1_0_1v
	.hidden	_Z47ncclDevFunc_AllReduce_RING_SIMPLE_Sum_u32_0_0_1v
	.hidden	_Z47ncclDevFunc_AllReduce_RING_SIMPLE_Sum_u32_1_0_1v
	.hidden	_Z47ncclDevFunc_AllReduce_RING_SIMPLE_Sum_u64_0_0_1v
	.hidden	_Z47ncclDevFunc_AllReduce_RING_SIMPLE_Sum_u64_1_0_1v
	.hidden	_Z47ncclDevFunc_AllReduce_RING_SIMPLE_Sum_f16_0_0_1v
	.hidden	_Z47ncclDevFunc_AllReduce_RING_SIMPLE_Sum_f16_1_0_1v
	.hidden	_Z47ncclDevFunc_AllReduce_RING_SIMPLE_Sum_f32_0_0_1v
	.hidden	_Z47ncclDevFunc_AllReduce_RING_SIMPLE_Sum_f32_1_0_1v
	.hidden	_Z47ncclDevFunc_AllReduce_RING_SIMPLE_Sum_f64_0_0_1v
	.hidden	_Z47ncclDevFunc_AllReduce_RING_SIMPLE_Sum_f64_1_0_1v
	.hidden	_Z48ncclDevFunc_AllReduce_RING_SIMPLE_Sum_bf16_0_0_1v
	.hidden	_Z48ncclDevFunc_AllReduce_RING_SIMPLE_Sum_bf16_0_1_1v
	.hidden	_Z48ncclDevFunc_AllReduce_RING_SIMPLE_Sum_bf16_1_0_1v
	.hidden	_Z48ncclDevFunc_AllReduce_RING_SIMPLE_Sum_bf16_1_1_1v
	.hidden	_Z50ncclDevFunc_AllReduce_RING_SIMPLE_Sum_f8e4m3_0_0_1v
	.hidden	_Z50ncclDevFunc_AllReduce_RING_SIMPLE_Sum_f8e4m3_1_0_1v
	.hidden	_Z50ncclDevFunc_AllReduce_RING_SIMPLE_Sum_f8e5m2_0_0_1v
	.hidden	_Z50ncclDevFunc_AllReduce_RING_SIMPLE_Sum_f8e5m2_1_0_1v
	.hidden	_Z47ncclDevFunc_AllReduce_RING_SIMPLE_Prod_u8_0_0_1v
	.hidden	_Z47ncclDevFunc_AllReduce_RING_SIMPLE_Prod_u8_1_0_1v
	.hidden	_Z48ncclDevFunc_AllReduce_RING_SIMPLE_Prod_u32_0_0_1v
	.hidden	_Z48ncclDevFunc_AllReduce_RING_SIMPLE_Prod_u32_1_0_1v
	.hidden	_Z48ncclDevFunc_AllReduce_RING_SIMPLE_Prod_u64_0_0_1v
	.hidden	_Z48ncclDevFunc_AllReduce_RING_SIMPLE_Prod_u64_1_0_1v
	.hidden	_Z48ncclDevFunc_AllReduce_RING_SIMPLE_Prod_f16_0_0_1v
	.hidden	_Z48ncclDevFunc_AllReduce_RING_SIMPLE_Prod_f16_1_0_1v
	.hidden	_Z48ncclDevFunc_AllReduce_RING_SIMPLE_Prod_f32_0_0_1v
	.hidden	_Z48ncclDevFunc_AllReduce_RING_SIMPLE_Prod_f32_1_0_1v
	.hidden	_Z48ncclDevFunc_AllReduce_RING_SIMPLE_Prod_f64_0_0_1v
	.hidden	_Z48ncclDevFunc_AllReduce_RING_SIMPLE_Prod_f64_1_0_1v
	.hidden	_Z49ncclDevFunc_AllReduce_RING_SIMPLE_Prod_bf16_0_0_1v
	.hidden	_Z49ncclDevFunc_AllReduce_RING_SIMPLE_Prod_bf16_0_1_1v
	.hidden	_Z49ncclDevFunc_AllReduce_RING_SIMPLE_Prod_bf16_1_0_1v
	.hidden	_Z49ncclDevFunc_AllReduce_RING_SIMPLE_Prod_bf16_1_1_1v
	.hidden	_Z51ncclDevFunc_AllReduce_RING_SIMPLE_Prod_f8e4m3_0_0_1v
	.hidden	_Z51ncclDevFunc_AllReduce_RING_SIMPLE_Prod_f8e4m3_1_0_1v
	.hidden	_Z51ncclDevFunc_AllReduce_RING_SIMPLE_Prod_f8e5m2_0_0_1v
	.hidden	_Z51ncclDevFunc_AllReduce_RING_SIMPLE_Prod_f8e5m2_1_0_1v
	.hidden	_Z49ncclDevFunc_AllReduce_RING_SIMPLE_MinMax_u8_0_0_1v
	.hidden	_Z49ncclDevFunc_AllReduce_RING_SIMPLE_MinMax_u8_1_0_1v
	.hidden	_Z50ncclDevFunc_AllReduce_RING_SIMPLE_MinMax_u32_0_0_1v
	.hidden	_Z50ncclDevFunc_AllReduce_RING_SIMPLE_MinMax_u32_1_0_1v
	.hidden	_Z50ncclDevFunc_AllReduce_RING_SIMPLE_MinMax_u64_0_0_1v
	.hidden	_Z50ncclDevFunc_AllReduce_RING_SIMPLE_MinMax_u64_1_0_1v
	.hidden	_Z50ncclDevFunc_AllReduce_RING_SIMPLE_MinMax_f16_0_0_1v
	.hidden	_Z50ncclDevFunc_AllReduce_RING_SIMPLE_MinMax_f16_1_0_1v
	.hidden	_Z50ncclDevFunc_AllReduce_RING_SIMPLE_MinMax_f32_0_0_1v
	.hidden	_Z50ncclDevFunc_AllReduce_RING_SIMPLE_MinMax_f32_1_0_1v
	.hidden	_Z50ncclDevFunc_AllReduce_RING_SIMPLE_MinMax_f64_0_0_1v
	.hidden	_Z50ncclDevFunc_AllReduce_RING_SIMPLE_MinMax_f64_1_0_1v
	.hidden	_Z51ncclDevFunc_AllReduce_RING_SIMPLE_MinMax_bf16_0_0_1v
	.hidden	_Z51ncclDevFunc_AllReduce_RING_SIMPLE_MinMax_bf16_0_1_1v
	.hidden	_Z51ncclDevFunc_AllReduce_RING_SIMPLE_MinMax_bf16_1_0_1v
	.hidden	_Z51ncclDevFunc_AllReduce_RING_SIMPLE_MinMax_bf16_1_1_1v
	.hidden	_Z53ncclDevFunc_AllReduce_RING_SIMPLE_MinMax_f8e4m3_0_0_1v
	.hidden	_Z53ncclDevFunc_AllReduce_RING_SIMPLE_MinMax_f8e4m3_1_0_1v
	.hidden	_Z53ncclDevFunc_AllReduce_RING_SIMPLE_MinMax_f8e5m2_0_0_1v
	.hidden	_Z53ncclDevFunc_AllReduce_RING_SIMPLE_MinMax_f8e5m2_1_0_1v
	.hidden	_Z52ncclDevFunc_AllReduce_RING_SIMPLE_PreMulSum_u8_0_0_1v
	.hidden	_Z52ncclDevFunc_AllReduce_RING_SIMPLE_PreMulSum_u8_1_0_1v
	.hidden	_Z53ncclDevFunc_AllReduce_RING_SIMPLE_PreMulSum_u32_0_0_1v
	.hidden	_Z53ncclDevFunc_AllReduce_RING_SIMPLE_PreMulSum_u32_1_0_1v
	.hidden	_Z53ncclDevFunc_AllReduce_RING_SIMPLE_PreMulSum_u64_0_0_1v
	.hidden	_Z53ncclDevFunc_AllReduce_RING_SIMPLE_PreMulSum_u64_1_0_1v
	.hidden	_Z53ncclDevFunc_AllReduce_RING_SIMPLE_PreMulSum_f16_0_0_1v
	.hidden	_Z53ncclDevFunc_AllReduce_RING_SIMPLE_PreMulSum_f16_1_0_1v
	.hidden	_Z53ncclDevFunc_AllReduce_RING_SIMPLE_PreMulSum_f32_0_0_1v
	.hidden	_Z53ncclDevFunc_AllReduce_RING_SIMPLE_PreMulSum_f32_1_0_1v
	.hidden	_Z53ncclDevFunc_AllReduce_RING_SIMPLE_PreMulSum_f64_0_0_1v
	.hidden	_Z53ncclDevFunc_AllReduce_RING_SIMPLE_PreMulSum_f64_1_0_1v
	.hidden	_Z54ncclDevFunc_AllReduce_RING_SIMPLE_PreMulSum_bf16_0_0_1v
	.hidden	_Z54ncclDevFunc_AllReduce_RING_SIMPLE_PreMulSum_bf16_0_1_1v
	.hidden	_Z54ncclDevFunc_AllReduce_RING_SIMPLE_PreMulSum_bf16_1_0_1v
	.hidden	_Z54ncclDevFunc_AllReduce_RING_SIMPLE_PreMulSum_bf16_1_1_1v
	.hidden	_Z56ncclDevFunc_AllReduce_RING_SIMPLE_PreMulSum_f8e4m3_0_0_1v
	.hidden	_Z56ncclDevFunc_AllReduce_RING_SIMPLE_PreMulSum_f8e4m3_1_0_1v
	.hidden	_Z56ncclDevFunc_AllReduce_RING_SIMPLE_PreMulSum_f8e5m2_0_0_1v
	.hidden	_Z56ncclDevFunc_AllReduce_RING_SIMPLE_PreMulSum_f8e5m2_1_0_1v
	.hidden	_Z53ncclDevFunc_AllReduce_RING_SIMPLE_SumPostDiv_u8_0_0_1v
	.hidden	_Z53ncclDevFunc_AllReduce_RING_SIMPLE_SumPostDiv_u8_1_0_1v
	.hidden	_Z54ncclDevFunc_AllReduce_RING_SIMPLE_SumPostDiv_u32_0_0_1v
	.hidden	_Z54ncclDevFunc_AllReduce_RING_SIMPLE_SumPostDiv_u32_1_0_1v
	.hidden	_Z54ncclDevFunc_AllReduce_RING_SIMPLE_SumPostDiv_u64_0_0_1v
	.hidden	_Z54ncclDevFunc_AllReduce_RING_SIMPLE_SumPostDiv_u64_1_0_1v
	.hidden	_Z45ncclDevFunc_SendRecv_RING_SIMPLE_Sum_i8_0_0_1v
	.hidden	_Z50ncclDevFunc_AlltoAllPivot_RING_SIMPLE_Sum_i8_0_0_1v
	.hidden	_Z42ncclDevFunc_Broadcast_RING_LL_Sum_i8_0_0_2v
	.hidden	_Z46ncclDevFunc_Broadcast_RING_SIMPLE_Sum_i8_0_0_2v
	.hidden	_Z43ncclDevFunc_Reduce_RING_SIMPLE_Sum_u8_0_0_2v
	.hidden	_Z44ncclDevFunc_Reduce_RING_SIMPLE_Sum_u32_0_0_2v
	.hidden	_Z44ncclDevFunc_Reduce_RING_SIMPLE_Sum_u64_0_0_2v
	.hidden	_Z44ncclDevFunc_Reduce_RING_SIMPLE_Sum_f16_0_0_2v
	.hidden	_Z44ncclDevFunc_Reduce_RING_SIMPLE_Sum_f32_0_0_2v
	.hidden	_Z44ncclDevFunc_Reduce_RING_SIMPLE_Sum_f64_0_0_2v
	.hidden	_Z45ncclDevFunc_Reduce_RING_SIMPLE_Sum_bf16_0_0_2v
	.hidden	_Z45ncclDevFunc_Reduce_RING_SIMPLE_Sum_bf16_0_1_2v
	.hidden	_Z47ncclDevFunc_Reduce_RING_SIMPLE_Sum_f8e4m3_0_0_2v
	.hidden	_Z47ncclDevFunc_Reduce_RING_SIMPLE_Sum_f8e5m2_0_0_2v
	.hidden	_Z44ncclDevFunc_Reduce_RING_SIMPLE_Prod_u8_0_0_2v
	.hidden	_Z45ncclDevFunc_Reduce_RING_SIMPLE_Prod_u32_0_0_2v
	.hidden	_Z45ncclDevFunc_Reduce_RING_SIMPLE_Prod_u64_0_0_2v
	.hidden	_Z45ncclDevFunc_Reduce_RING_SIMPLE_Prod_f16_0_0_2v
	.hidden	_Z45ncclDevFunc_Reduce_RING_SIMPLE_Prod_f32_0_0_2v
	.hidden	_Z45ncclDevFunc_Reduce_RING_SIMPLE_Prod_f64_0_0_2v
	.hidden	_Z46ncclDevFunc_Reduce_RING_SIMPLE_Prod_bf16_0_0_2v
	.hidden	_Z46ncclDevFunc_Reduce_RING_SIMPLE_Prod_bf16_0_1_2v
	.hidden	_Z48ncclDevFunc_Reduce_RING_SIMPLE_Prod_f8e4m3_0_0_2v
	.hidden	_Z48ncclDevFunc_Reduce_RING_SIMPLE_Prod_f8e5m2_0_0_2v
	.hidden	_Z46ncclDevFunc_Reduce_RING_SIMPLE_MinMax_u8_0_0_2v
	.hidden	_Z47ncclDevFunc_Reduce_RING_SIMPLE_MinMax_u32_0_0_2v
	.hidden	_Z47ncclDevFunc_Reduce_RING_SIMPLE_MinMax_u64_0_0_2v
	.hidden	_Z47ncclDevFunc_Reduce_RING_SIMPLE_MinMax_f16_0_0_2v
	.hidden	_Z47ncclDevFunc_Reduce_RING_SIMPLE_MinMax_f32_0_0_2v
	.hidden	_Z47ncclDevFunc_Reduce_RING_SIMPLE_MinMax_f64_0_0_2v
	.hidden	_Z48ncclDevFunc_Reduce_RING_SIMPLE_MinMax_bf16_0_0_2v
	.hidden	_Z48ncclDevFunc_Reduce_RING_SIMPLE_MinMax_bf16_0_1_2v
	.hidden	_Z50ncclDevFunc_Reduce_RING_SIMPLE_MinMax_f8e4m3_0_0_2v
	.hidden	_Z50ncclDevFunc_Reduce_RING_SIMPLE_MinMax_f8e5m2_0_0_2v
	.hidden	_Z49ncclDevFunc_Reduce_RING_SIMPLE_PreMulSum_u8_0_0_2v
	.hidden	_Z50ncclDevFunc_Reduce_RING_SIMPLE_PreMulSum_u32_0_0_2v
	.hidden	_Z50ncclDevFunc_Reduce_RING_SIMPLE_PreMulSum_u64_0_0_2v
	.hidden	_Z50ncclDevFunc_Reduce_RING_SIMPLE_PreMulSum_f16_0_0_2v
	.hidden	_Z50ncclDevFunc_Reduce_RING_SIMPLE_PreMulSum_f32_0_0_2v
	.hidden	_Z50ncclDevFunc_Reduce_RING_SIMPLE_PreMulSum_f64_0_0_2v
	.hidden	_Z51ncclDevFunc_Reduce_RING_SIMPLE_PreMulSum_bf16_0_0_2v
	.hidden	_Z51ncclDevFunc_Reduce_RING_SIMPLE_PreMulSum_bf16_0_1_2v
	.hidden	_Z53ncclDevFunc_Reduce_RING_SIMPLE_PreMulSum_f8e4m3_0_0_2v
	.hidden	_Z53ncclDevFunc_Reduce_RING_SIMPLE_PreMulSum_f8e5m2_0_0_2v
	.hidden	_Z50ncclDevFunc_Reduce_RING_SIMPLE_SumPostDiv_u8_0_0_2v
	.hidden	_Z51ncclDevFunc_Reduce_RING_SIMPLE_SumPostDiv_u32_0_0_2v
	.hidden	_Z51ncclDevFunc_Reduce_RING_SIMPLE_SumPostDiv_u64_0_0_2v
	.hidden	_Z42ncclDevFunc_AllGather_RING_LL_Sum_i8_0_0_2v
	.hidden	_Z46ncclDevFunc_AllGather_RING_SIMPLE_Sum_i8_0_0_2v
	.hidden	_Z41ncclDevFunc_AllGather_PAT_LL_Sum_i8_0_0_2v
	.hidden	_Z45ncclDevFunc_AllGather_PAT_SIMPLE_Sum_i8_0_0_2v
	.hidden	_Z46ncclDevFunc_ReduceScatter_RING_LL_Sum_u8_0_0_2v
	.hidden	_Z47ncclDevFunc_ReduceScatter_RING_LL_Sum_u32_0_0_2v
	.hidden	_Z47ncclDevFunc_ReduceScatter_RING_LL_Sum_u64_0_0_2v
	.hidden	_Z47ncclDevFunc_ReduceScatter_RING_LL_Sum_f16_0_0_2v
	.hidden	_Z47ncclDevFunc_ReduceScatter_RING_LL_Sum_f32_0_0_2v
	.hidden	_Z47ncclDevFunc_ReduceScatter_RING_LL_Sum_f64_0_0_2v
	.hidden	_Z48ncclDevFunc_ReduceScatter_RING_LL_Sum_bf16_0_0_2v
	.hidden	_Z50ncclDevFunc_ReduceScatter_RING_LL_Sum_f8e4m3_0_0_2v
	.hidden	_Z50ncclDevFunc_ReduceScatter_RING_LL_Sum_f8e5m2_0_0_2v
	.hidden	_Z47ncclDevFunc_ReduceScatter_RING_LL_Prod_u8_0_0_2v
	.hidden	_Z48ncclDevFunc_ReduceScatter_RING_LL_Prod_u32_0_0_2v
	.hidden	_Z48ncclDevFunc_ReduceScatter_RING_LL_Prod_u64_0_0_2v
	.hidden	_Z48ncclDevFunc_ReduceScatter_RING_LL_Prod_f16_0_0_2v
	.hidden	_Z48ncclDevFunc_ReduceScatter_RING_LL_Prod_f32_0_0_2v
	.hidden	_Z48ncclDevFunc_ReduceScatter_RING_LL_Prod_f64_0_0_2v
	.hidden	_Z49ncclDevFunc_ReduceScatter_RING_LL_Prod_bf16_0_0_2v
	.hidden	_Z51ncclDevFunc_ReduceScatter_RING_LL_Prod_f8e4m3_0_0_2v
	.hidden	_Z51ncclDevFunc_ReduceScatter_RING_LL_Prod_f8e5m2_0_0_2v
	.hidden	_Z49ncclDevFunc_ReduceScatter_RING_LL_MinMax_u8_0_0_2v
	.hidden	_Z50ncclDevFunc_ReduceScatter_RING_LL_MinMax_u32_0_0_2v
	.hidden	_Z50ncclDevFunc_ReduceScatter_RING_LL_MinMax_u64_0_0_2v
	.hidden	_Z50ncclDevFunc_ReduceScatter_RING_LL_MinMax_f16_0_0_2v
	.hidden	_Z50ncclDevFunc_ReduceScatter_RING_LL_MinMax_f32_0_0_2v
	.hidden	_Z50ncclDevFunc_ReduceScatter_RING_LL_MinMax_f64_0_0_2v
	.hidden	_Z51ncclDevFunc_ReduceScatter_RING_LL_MinMax_bf16_0_0_2v
	.hidden	_Z53ncclDevFunc_ReduceScatter_RING_LL_MinMax_f8e4m3_0_0_2v
	.hidden	_Z53ncclDevFunc_ReduceScatter_RING_LL_MinMax_f8e5m2_0_0_2v
	.hidden	_Z52ncclDevFunc_ReduceScatter_RING_LL_PreMulSum_u8_0_0_2v
	.hidden	_Z53ncclDevFunc_ReduceScatter_RING_LL_PreMulSum_u32_0_0_2v
	.hidden	_Z53ncclDevFunc_ReduceScatter_RING_LL_PreMulSum_u64_0_0_2v
	.hidden	_Z53ncclDevFunc_ReduceScatter_RING_LL_PreMulSum_f16_0_0_2v
	.hidden	_Z53ncclDevFunc_ReduceScatter_RING_LL_PreMulSum_f32_0_0_2v
	.hidden	_Z53ncclDevFunc_ReduceScatter_RING_LL_PreMulSum_f64_0_0_2v
	.hidden	_Z54ncclDevFunc_ReduceScatter_RING_LL_PreMulSum_bf16_0_0_2v
	.hidden	_Z56ncclDevFunc_ReduceScatter_RING_LL_PreMulSum_f8e4m3_0_0_2v
	.hidden	_Z56ncclDevFunc_ReduceScatter_RING_LL_PreMulSum_f8e5m2_0_0_2v
	.hidden	_Z53ncclDevFunc_ReduceScatter_RING_LL_SumPostDiv_u8_0_0_2v
	.hidden	_Z54ncclDevFunc_ReduceScatter_RING_LL_SumPostDiv_u32_0_0_2v
	.hidden	_Z54ncclDevFunc_ReduceScatter_RING_LL_SumPostDiv_u64_0_0_2v
	.hidden	_Z46ncclDevFunc_AllReduce_RING_SIMPLE_Sum_u8_0_0_2v
	.hidden	_Z46ncclDevFunc_AllReduce_RING_SIMPLE_Sum_u8_1_0_2v
	.hidden	_Z47ncclDevFunc_AllReduce_RING_SIMPLE_Sum_u32_0_0_2v
	.hidden	_Z47ncclDevFunc_AllReduce_RING_SIMPLE_Sum_u32_1_0_2v
	.hidden	_Z47ncclDevFunc_AllReduce_RING_SIMPLE_Sum_u64_0_0_2v
	.hidden	_Z47ncclDevFunc_AllReduce_RING_SIMPLE_Sum_u64_1_0_2v
	.hidden	_Z47ncclDevFunc_AllReduce_RING_SIMPLE_Sum_f16_0_0_2v
	.hidden	_Z47ncclDevFunc_AllReduce_RING_SIMPLE_Sum_f16_1_0_2v
	.hidden	_Z47ncclDevFunc_AllReduce_RING_SIMPLE_Sum_f32_0_0_2v
	.hidden	_Z47ncclDevFunc_AllReduce_RING_SIMPLE_Sum_f32_1_0_2v
	.hidden	_Z47ncclDevFunc_AllReduce_RING_SIMPLE_Sum_f64_0_0_2v
	.hidden	_Z47ncclDevFunc_AllReduce_RING_SIMPLE_Sum_f64_1_0_2v
	.hidden	_Z48ncclDevFunc_AllReduce_RING_SIMPLE_Sum_bf16_0_0_2v
	.hidden	_Z48ncclDevFunc_AllReduce_RING_SIMPLE_Sum_bf16_0_1_2v
	.hidden	_Z48ncclDevFunc_AllReduce_RING_SIMPLE_Sum_bf16_1_0_2v
	.hidden	_Z48ncclDevFunc_AllReduce_RING_SIMPLE_Sum_bf16_1_1_2v
	.hidden	_Z50ncclDevFunc_AllReduce_RING_SIMPLE_Sum_f8e4m3_0_0_2v
	.hidden	_Z50ncclDevFunc_AllReduce_RING_SIMPLE_Sum_f8e4m3_1_0_2v
	.hidden	_Z50ncclDevFunc_AllReduce_RING_SIMPLE_Sum_f8e5m2_0_0_2v
	.hidden	_Z50ncclDevFunc_AllReduce_RING_SIMPLE_Sum_f8e5m2_1_0_2v
	.hidden	_Z47ncclDevFunc_AllReduce_RING_SIMPLE_Prod_u8_0_0_2v
	.hidden	_Z47ncclDevFunc_AllReduce_RING_SIMPLE_Prod_u8_1_0_2v
	.hidden	_Z48ncclDevFunc_AllReduce_RING_SIMPLE_Prod_u32_0_0_2v
	.hidden	_Z48ncclDevFunc_AllReduce_RING_SIMPLE_Prod_u32_1_0_2v
	.hidden	_Z48ncclDevFunc_AllReduce_RING_SIMPLE_Prod_u64_0_0_2v
	.hidden	_Z48ncclDevFunc_AllReduce_RING_SIMPLE_Prod_u64_1_0_2v
	.hidden	_Z48ncclDevFunc_AllReduce_RING_SIMPLE_Prod_f16_0_0_2v
	.hidden	_Z48ncclDevFunc_AllReduce_RING_SIMPLE_Prod_f16_1_0_2v
	.hidden	_Z48ncclDevFunc_AllReduce_RING_SIMPLE_Prod_f32_0_0_2v
	.hidden	_Z48ncclDevFunc_AllReduce_RING_SIMPLE_Prod_f32_1_0_2v
	.hidden	_Z48ncclDevFunc_AllReduce_RING_SIMPLE_Prod_f64_0_0_2v
	.hidden	_Z48ncclDevFunc_AllReduce_RING_SIMPLE_Prod_f64_1_0_2v
	.hidden	_Z49ncclDevFunc_AllReduce_RING_SIMPLE_Prod_bf16_0_0_2v
	.hidden	_Z49ncclDevFunc_AllReduce_RING_SIMPLE_Prod_bf16_0_1_2v
	.hidden	_Z49ncclDevFunc_AllReduce_RING_SIMPLE_Prod_bf16_1_0_2v
	.hidden	_Z49ncclDevFunc_AllReduce_RING_SIMPLE_Prod_bf16_1_1_2v
	.hidden	_Z51ncclDevFunc_AllReduce_RING_SIMPLE_Prod_f8e4m3_0_0_2v
	.hidden	_Z51ncclDevFunc_AllReduce_RING_SIMPLE_Prod_f8e4m3_1_0_2v
	.hidden	_Z51ncclDevFunc_AllReduce_RING_SIMPLE_Prod_f8e5m2_0_0_2v
	.hidden	_Z51ncclDevFunc_AllReduce_RING_SIMPLE_Prod_f8e5m2_1_0_2v
	.hidden	_Z49ncclDevFunc_AllReduce_RING_SIMPLE_MinMax_u8_0_0_2v
	.hidden	_Z49ncclDevFunc_AllReduce_RING_SIMPLE_MinMax_u8_1_0_2v
	.hidden	_Z50ncclDevFunc_AllReduce_RING_SIMPLE_MinMax_u32_0_0_2v
	.hidden	_Z50ncclDevFunc_AllReduce_RING_SIMPLE_MinMax_u32_1_0_2v
	.hidden	_Z50ncclDevFunc_AllReduce_RING_SIMPLE_MinMax_u64_0_0_2v
	.hidden	_Z50ncclDevFunc_AllReduce_RING_SIMPLE_MinMax_u64_1_0_2v
	.hidden	_Z50ncclDevFunc_AllReduce_RING_SIMPLE_MinMax_f16_0_0_2v
	.hidden	_Z50ncclDevFunc_AllReduce_RING_SIMPLE_MinMax_f16_1_0_2v
	.hidden	_Z50ncclDevFunc_AllReduce_RING_SIMPLE_MinMax_f32_0_0_2v
	.hidden	_Z50ncclDevFunc_AllReduce_RING_SIMPLE_MinMax_f32_1_0_2v
	.hidden	_Z50ncclDevFunc_AllReduce_RING_SIMPLE_MinMax_f64_0_0_2v
	.hidden	_Z50ncclDevFunc_AllReduce_RING_SIMPLE_MinMax_f64_1_0_2v
	.hidden	_Z51ncclDevFunc_AllReduce_RING_SIMPLE_MinMax_bf16_0_0_2v
	.hidden	_Z51ncclDevFunc_AllReduce_RING_SIMPLE_MinMax_bf16_0_1_2v
	.hidden	_Z51ncclDevFunc_AllReduce_RING_SIMPLE_MinMax_bf16_1_0_2v
	.hidden	_Z51ncclDevFunc_AllReduce_RING_SIMPLE_MinMax_bf16_1_1_2v
	.hidden	_Z53ncclDevFunc_AllReduce_RING_SIMPLE_MinMax_f8e4m3_0_0_2v
	.hidden	_Z53ncclDevFunc_AllReduce_RING_SIMPLE_MinMax_f8e4m3_1_0_2v
	.hidden	_Z53ncclDevFunc_AllReduce_RING_SIMPLE_MinMax_f8e5m2_0_0_2v
	.hidden	_Z53ncclDevFunc_AllReduce_RING_SIMPLE_MinMax_f8e5m2_1_0_2v
	.hidden	_Z52ncclDevFunc_AllReduce_RING_SIMPLE_PreMulSum_u8_0_0_2v
	.hidden	_Z52ncclDevFunc_AllReduce_RING_SIMPLE_PreMulSum_u8_1_0_2v
	.hidden	_Z53ncclDevFunc_AllReduce_RING_SIMPLE_PreMulSum_u32_0_0_2v
	.hidden	_Z53ncclDevFunc_AllReduce_RING_SIMPLE_PreMulSum_u32_1_0_2v
	.hidden	_Z53ncclDevFunc_AllReduce_RING_SIMPLE_PreMulSum_u64_0_0_2v
	.hidden	_Z53ncclDevFunc_AllReduce_RING_SIMPLE_PreMulSum_u64_1_0_2v
	.hidden	_Z53ncclDevFunc_AllReduce_RING_SIMPLE_PreMulSum_f16_0_0_2v
	.hidden	_Z53ncclDevFunc_AllReduce_RING_SIMPLE_PreMulSum_f16_1_0_2v
	.hidden	_Z53ncclDevFunc_AllReduce_RING_SIMPLE_PreMulSum_f32_0_0_2v
	.hidden	_Z53ncclDevFunc_AllReduce_RING_SIMPLE_PreMulSum_f32_1_0_2v
	.hidden	_Z53ncclDevFunc_AllReduce_RING_SIMPLE_PreMulSum_f64_0_0_2v
	.hidden	_Z53ncclDevFunc_AllReduce_RING_SIMPLE_PreMulSum_f64_1_0_2v
	.hidden	_Z54ncclDevFunc_AllReduce_RING_SIMPLE_PreMulSum_bf16_0_0_2v
	.hidden	_Z54ncclDevFunc_AllReduce_RING_SIMPLE_PreMulSum_bf16_0_1_2v
	.hidden	_Z54ncclDevFunc_AllReduce_RING_SIMPLE_PreMulSum_bf16_1_0_2v
	.hidden	_Z54ncclDevFunc_AllReduce_RING_SIMPLE_PreMulSum_bf16_1_1_2v
	.hidden	_Z56ncclDevFunc_AllReduce_RING_SIMPLE_PreMulSum_f8e4m3_0_0_2v
	.hidden	_Z56ncclDevFunc_AllReduce_RING_SIMPLE_PreMulSum_f8e4m3_1_0_2v
	.hidden	_Z56ncclDevFunc_AllReduce_RING_SIMPLE_PreMulSum_f8e5m2_0_0_2v
	.hidden	_Z56ncclDevFunc_AllReduce_RING_SIMPLE_PreMulSum_f8e5m2_1_0_2v
	.hidden	_Z53ncclDevFunc_AllReduce_RING_SIMPLE_SumPostDiv_u8_0_0_2v
	.hidden	_Z53ncclDevFunc_AllReduce_RING_SIMPLE_SumPostDiv_u8_1_0_2v
	.hidden	_Z54ncclDevFunc_AllReduce_RING_SIMPLE_SumPostDiv_u32_0_0_2v
	.hidden	_Z54ncclDevFunc_AllReduce_RING_SIMPLE_SumPostDiv_u32_1_0_2v
	.hidden	_Z54ncclDevFunc_AllReduce_RING_SIMPLE_SumPostDiv_u64_0_0_2v
	.hidden	_Z54ncclDevFunc_AllReduce_RING_SIMPLE_SumPostDiv_u64_1_0_2v
	.hidden	_Z45ncclDevFunc_SendRecv_RING_SIMPLE_Sum_i8_0_0_2v
	.hidden	_Z50ncclDevFunc_AlltoAllPivot_RING_SIMPLE_Sum_i8_0_0_2v
	.hidden	_Z42ncclDevFunc_Broadcast_RING_LL_Sum_i8_0_0_4v
	.hidden	_Z46ncclDevFunc_Broadcast_RING_SIMPLE_Sum_i8_0_0_4v
	.hidden	_Z43ncclDevFunc_Reduce_RING_SIMPLE_Sum_u8_0_0_4v
	.hidden	_Z44ncclDevFunc_Reduce_RING_SIMPLE_Sum_u32_0_0_4v
	.hidden	_Z44ncclDevFunc_Reduce_RING_SIMPLE_Sum_u64_0_0_4v
	.hidden	_Z44ncclDevFunc_Reduce_RING_SIMPLE_Sum_f16_0_0_4v
	.hidden	_Z44ncclDevFunc_Reduce_RING_SIMPLE_Sum_f32_0_0_4v
	.hidden	_Z44ncclDevFunc_Reduce_RING_SIMPLE_Sum_f64_0_0_4v
	.hidden	_Z45ncclDevFunc_Reduce_RING_SIMPLE_Sum_bf16_0_0_4v
	.hidden	_Z45ncclDevFunc_Reduce_RING_SIMPLE_Sum_bf16_0_1_4v
	.hidden	_Z47ncclDevFunc_Reduce_RING_SIMPLE_Sum_f8e4m3_0_0_4v
	.hidden	_Z47ncclDevFunc_Reduce_RING_SIMPLE_Sum_f8e5m2_0_0_4v
	.hidden	_Z44ncclDevFunc_Reduce_RING_SIMPLE_Prod_u8_0_0_4v
	.hidden	_Z45ncclDevFunc_Reduce_RING_SIMPLE_Prod_u32_0_0_4v
	.hidden	_Z45ncclDevFunc_Reduce_RING_SIMPLE_Prod_u64_0_0_4v
	.hidden	_Z45ncclDevFunc_Reduce_RING_SIMPLE_Prod_f16_0_0_4v
	.hidden	_Z45ncclDevFunc_Reduce_RING_SIMPLE_Prod_f32_0_0_4v
	.hidden	_Z45ncclDevFunc_Reduce_RING_SIMPLE_Prod_f64_0_0_4v
	.hidden	_Z46ncclDevFunc_Reduce_RING_SIMPLE_Prod_bf16_0_0_4v
	.hidden	_Z46ncclDevFunc_Reduce_RING_SIMPLE_Prod_bf16_0_1_4v
	.hidden	_Z48ncclDevFunc_Reduce_RING_SIMPLE_Prod_f8e4m3_0_0_4v
	.hidden	_Z48ncclDevFunc_Reduce_RING_SIMPLE_Prod_f8e5m2_0_0_4v
	.hidden	_Z46ncclDevFunc_Reduce_RING_SIMPLE_MinMax_u8_0_0_4v
	.hidden	_Z47ncclDevFunc_Reduce_RING_SIMPLE_MinMax_u32_0_0_4v
	.hidden	_Z47ncclDevFunc_Reduce_RING_SIMPLE_MinMax_u64_0_0_4v
	.hidden	_Z47ncclDevFunc_Reduce_RING_SIMPLE_MinMax_f16_0_0_4v
	.hidden	_Z47ncclDevFunc_Reduce_RING_SIMPLE_MinMax_f32_0_0_4v
	.hidden	_Z47ncclDevFunc_Reduce_RING_SIMPLE_MinMax_f64_0_0_4v
	.hidden	_Z48ncclDevFunc_Reduce_RING_SIMPLE_MinMax_bf16_0_0_4v
	.hidden	_Z48ncclDevFunc_Reduce_RING_SIMPLE_MinMax_bf16_0_1_4v
	.hidden	_Z50ncclDevFunc_Reduce_RING_SIMPLE_MinMax_f8e4m3_0_0_4v
	.hidden	_Z50ncclDevFunc_Reduce_RING_SIMPLE_MinMax_f8e5m2_0_0_4v
	.hidden	_Z49ncclDevFunc_Reduce_RING_SIMPLE_PreMulSum_u8_0_0_4v
	.hidden	_Z50ncclDevFunc_Reduce_RING_SIMPLE_PreMulSum_u32_0_0_4v
	.hidden	_Z50ncclDevFunc_Reduce_RING_SIMPLE_PreMulSum_u64_0_0_4v
	.hidden	_Z50ncclDevFunc_Reduce_RING_SIMPLE_PreMulSum_f16_0_0_4v
	.hidden	_Z50ncclDevFunc_Reduce_RING_SIMPLE_PreMulSum_f32_0_0_4v
	.hidden	_Z50ncclDevFunc_Reduce_RING_SIMPLE_PreMulSum_f64_0_0_4v
	.hidden	_Z51ncclDevFunc_Reduce_RING_SIMPLE_PreMulSum_bf16_0_0_4v
	.hidden	_Z51ncclDevFunc_Reduce_RING_SIMPLE_PreMulSum_bf16_0_1_4v
	.hidden	_Z53ncclDevFunc_Reduce_RING_SIMPLE_PreMulSum_f8e4m3_0_0_4v
	.hidden	_Z53ncclDevFunc_Reduce_RING_SIMPLE_PreMulSum_f8e5m2_0_0_4v
	.hidden	_Z50ncclDevFunc_Reduce_RING_SIMPLE_SumPostDiv_u8_0_0_4v
	.hidden	_Z51ncclDevFunc_Reduce_RING_SIMPLE_SumPostDiv_u32_0_0_4v
	.hidden	_Z51ncclDevFunc_Reduce_RING_SIMPLE_SumPostDiv_u64_0_0_4v
	.hidden	_Z42ncclDevFunc_AllGather_RING_LL_Sum_i8_0_0_4v
	.hidden	_Z46ncclDevFunc_AllGather_RING_SIMPLE_Sum_i8_0_0_4v
	.hidden	_Z41ncclDevFunc_AllGather_PAT_LL_Sum_i8_0_0_4v
	.hidden	_Z45ncclDevFunc_AllGather_PAT_SIMPLE_Sum_i8_0_0_4v
	.hidden	_Z46ncclDevFunc_ReduceScatter_RING_LL_Sum_u8_0_0_4v
	.hidden	_Z47ncclDevFunc_ReduceScatter_RING_LL_Sum_u32_0_0_4v
	.hidden	_Z47ncclDevFunc_ReduceScatter_RING_LL_Sum_u64_0_0_4v
	.hidden	_Z47ncclDevFunc_ReduceScatter_RING_LL_Sum_f16_0_0_4v
	.hidden	_Z47ncclDevFunc_ReduceScatter_RING_LL_Sum_f32_0_0_4v
	.hidden	_Z47ncclDevFunc_ReduceScatter_RING_LL_Sum_f64_0_0_4v
	.hidden	_Z48ncclDevFunc_ReduceScatter_RING_LL_Sum_bf16_0_0_4v
	.hidden	_Z50ncclDevFunc_ReduceScatter_RING_LL_Sum_f8e4m3_0_0_4v
	.hidden	_Z50ncclDevFunc_ReduceScatter_RING_LL_Sum_f8e5m2_0_0_4v
	.hidden	_Z47ncclDevFunc_ReduceScatter_RING_LL_Prod_u8_0_0_4v
	.hidden	_Z48ncclDevFunc_ReduceScatter_RING_LL_Prod_u32_0_0_4v
	.hidden	_Z48ncclDevFunc_ReduceScatter_RING_LL_Prod_u64_0_0_4v
	.hidden	_Z48ncclDevFunc_ReduceScatter_RING_LL_Prod_f16_0_0_4v
	.hidden	_Z48ncclDevFunc_ReduceScatter_RING_LL_Prod_f32_0_0_4v
	.hidden	_Z48ncclDevFunc_ReduceScatter_RING_LL_Prod_f64_0_0_4v
	.hidden	_Z49ncclDevFunc_ReduceScatter_RING_LL_Prod_bf16_0_0_4v
	.hidden	_Z51ncclDevFunc_ReduceScatter_RING_LL_Prod_f8e4m3_0_0_4v
	.hidden	_Z51ncclDevFunc_ReduceScatter_RING_LL_Prod_f8e5m2_0_0_4v
	.hidden	_Z49ncclDevFunc_ReduceScatter_RING_LL_MinMax_u8_0_0_4v
	.hidden	_Z50ncclDevFunc_ReduceScatter_RING_LL_MinMax_u32_0_0_4v
	.hidden	_Z50ncclDevFunc_ReduceScatter_RING_LL_MinMax_u64_0_0_4v
	.hidden	_Z50ncclDevFunc_ReduceScatter_RING_LL_MinMax_f16_0_0_4v
	.hidden	_Z50ncclDevFunc_ReduceScatter_RING_LL_MinMax_f32_0_0_4v
	.hidden	_Z50ncclDevFunc_ReduceScatter_RING_LL_MinMax_f64_0_0_4v
	.hidden	_Z51ncclDevFunc_ReduceScatter_RING_LL_MinMax_bf16_0_0_4v
	.hidden	_Z53ncclDevFunc_ReduceScatter_RING_LL_MinMax_f8e4m3_0_0_4v
	.hidden	_Z53ncclDevFunc_ReduceScatter_RING_LL_MinMax_f8e5m2_0_0_4v
	.hidden	_Z52ncclDevFunc_ReduceScatter_RING_LL_PreMulSum_u8_0_0_4v
	.hidden	_Z53ncclDevFunc_ReduceScatter_RING_LL_PreMulSum_u32_0_0_4v
	.hidden	_Z53ncclDevFunc_ReduceScatter_RING_LL_PreMulSum_u64_0_0_4v
	.hidden	_Z53ncclDevFunc_ReduceScatter_RING_LL_PreMulSum_f16_0_0_4v
	.hidden	_Z53ncclDevFunc_ReduceScatter_RING_LL_PreMulSum_f32_0_0_4v
	.hidden	_Z53ncclDevFunc_ReduceScatter_RING_LL_PreMulSum_f64_0_0_4v
	.hidden	_Z54ncclDevFunc_ReduceScatter_RING_LL_PreMulSum_bf16_0_0_4v
	.hidden	_Z56ncclDevFunc_ReduceScatter_RING_LL_PreMulSum_f8e4m3_0_0_4v
	.hidden	_Z56ncclDevFunc_ReduceScatter_RING_LL_PreMulSum_f8e5m2_0_0_4v
	.hidden	_Z53ncclDevFunc_ReduceScatter_RING_LL_SumPostDiv_u8_0_0_4v
	.hidden	_Z54ncclDevFunc_ReduceScatter_RING_LL_SumPostDiv_u32_0_0_4v
	.hidden	_Z54ncclDevFunc_ReduceScatter_RING_LL_SumPostDiv_u64_0_0_4v
	.hidden	_Z46ncclDevFunc_AllReduce_RING_SIMPLE_Sum_u8_0_0_4v
	.hidden	_Z46ncclDevFunc_AllReduce_RING_SIMPLE_Sum_u8_1_0_4v
	.hidden	_Z47ncclDevFunc_AllReduce_RING_SIMPLE_Sum_u32_0_0_4v
	.hidden	_Z47ncclDevFunc_AllReduce_RING_SIMPLE_Sum_u32_1_0_4v
	.hidden	_Z47ncclDevFunc_AllReduce_RING_SIMPLE_Sum_u64_0_0_4v
	.hidden	_Z47ncclDevFunc_AllReduce_RING_SIMPLE_Sum_u64_1_0_4v
	.hidden	_Z47ncclDevFunc_AllReduce_RING_SIMPLE_Sum_f16_0_0_4v
	.hidden	_Z47ncclDevFunc_AllReduce_RING_SIMPLE_Sum_f16_1_0_4v
	.hidden	_Z47ncclDevFunc_AllReduce_RING_SIMPLE_Sum_f32_0_0_4v
	.hidden	_Z47ncclDevFunc_AllReduce_RING_SIMPLE_Sum_f32_1_0_4v
	.hidden	_Z47ncclDevFunc_AllReduce_RING_SIMPLE_Sum_f64_0_0_4v
	.hidden	_Z47ncclDevFunc_AllReduce_RING_SIMPLE_Sum_f64_1_0_4v
	.hidden	_Z48ncclDevFunc_AllReduce_RING_SIMPLE_Sum_bf16_0_0_4v
	.hidden	_Z48ncclDevFunc_AllReduce_RING_SIMPLE_Sum_bf16_0_1_4v
	.hidden	_Z48ncclDevFunc_AllReduce_RING_SIMPLE_Sum_bf16_1_0_4v
	.hidden	_Z48ncclDevFunc_AllReduce_RING_SIMPLE_Sum_bf16_1_1_4v
	.hidden	_Z50ncclDevFunc_AllReduce_RING_SIMPLE_Sum_f8e4m3_0_0_4v
	.hidden	_Z50ncclDevFunc_AllReduce_RING_SIMPLE_Sum_f8e4m3_1_0_4v
	.hidden	_Z50ncclDevFunc_AllReduce_RING_SIMPLE_Sum_f8e5m2_0_0_4v
	.hidden	_Z50ncclDevFunc_AllReduce_RING_SIMPLE_Sum_f8e5m2_1_0_4v
	.hidden	_Z47ncclDevFunc_AllReduce_RING_SIMPLE_Prod_u8_0_0_4v
	.hidden	_Z47ncclDevFunc_AllReduce_RING_SIMPLE_Prod_u8_1_0_4v
	.hidden	_Z48ncclDevFunc_AllReduce_RING_SIMPLE_Prod_u32_0_0_4v
	.hidden	_Z48ncclDevFunc_AllReduce_RING_SIMPLE_Prod_u32_1_0_4v
	.hidden	_Z48ncclDevFunc_AllReduce_RING_SIMPLE_Prod_u64_0_0_4v
	.hidden	_Z48ncclDevFunc_AllReduce_RING_SIMPLE_Prod_u64_1_0_4v
	.hidden	_Z48ncclDevFunc_AllReduce_RING_SIMPLE_Prod_f16_0_0_4v
	.hidden	_Z48ncclDevFunc_AllReduce_RING_SIMPLE_Prod_f16_1_0_4v
	.hidden	_Z48ncclDevFunc_AllReduce_RING_SIMPLE_Prod_f32_0_0_4v
	.hidden	_Z48ncclDevFunc_AllReduce_RING_SIMPLE_Prod_f32_1_0_4v
	.hidden	_Z48ncclDevFunc_AllReduce_RING_SIMPLE_Prod_f64_0_0_4v
	.hidden	_Z48ncclDevFunc_AllReduce_RING_SIMPLE_Prod_f64_1_0_4v
	.hidden	_Z49ncclDevFunc_AllReduce_RING_SIMPLE_Prod_bf16_0_0_4v
	.hidden	_Z49ncclDevFunc_AllReduce_RING_SIMPLE_Prod_bf16_0_1_4v
	.hidden	_Z49ncclDevFunc_AllReduce_RING_SIMPLE_Prod_bf16_1_0_4v
	.hidden	_Z49ncclDevFunc_AllReduce_RING_SIMPLE_Prod_bf16_1_1_4v
	.hidden	_Z51ncclDevFunc_AllReduce_RING_SIMPLE_Prod_f8e4m3_0_0_4v
	.hidden	_Z51ncclDevFunc_AllReduce_RING_SIMPLE_Prod_f8e4m3_1_0_4v
	.hidden	_Z51ncclDevFunc_AllReduce_RING_SIMPLE_Prod_f8e5m2_0_0_4v
	.hidden	_Z51ncclDevFunc_AllReduce_RING_SIMPLE_Prod_f8e5m2_1_0_4v
	.hidden	_Z49ncclDevFunc_AllReduce_RING_SIMPLE_MinMax_u8_0_0_4v
	.hidden	_Z49ncclDevFunc_AllReduce_RING_SIMPLE_MinMax_u8_1_0_4v
	.hidden	_Z50ncclDevFunc_AllReduce_RING_SIMPLE_MinMax_u32_0_0_4v
	.hidden	_Z50ncclDevFunc_AllReduce_RING_SIMPLE_MinMax_u32_1_0_4v
	.hidden	_Z50ncclDevFunc_AllReduce_RING_SIMPLE_MinMax_u64_0_0_4v
	.hidden	_Z50ncclDevFunc_AllReduce_RING_SIMPLE_MinMax_u64_1_0_4v
	.hidden	_Z50ncclDevFunc_AllReduce_RING_SIMPLE_MinMax_f16_0_0_4v
	.hidden	_Z50ncclDevFunc_AllReduce_RING_SIMPLE_MinMax_f16_1_0_4v
	.hidden	_Z50ncclDevFunc_AllReduce_RING_SIMPLE_MinMax_f32_0_0_4v
	.hidden	_Z50ncclDevFunc_AllReduce_RING_SIMPLE_MinMax_f32_1_0_4v
	.hidden	_Z50ncclDevFunc_AllReduce_RING_SIMPLE_MinMax_f64_0_0_4v
	.hidden	_Z50ncclDevFunc_AllReduce_RING_SIMPLE_MinMax_f64_1_0_4v
	.hidden	_Z51ncclDevFunc_AllReduce_RING_SIMPLE_MinMax_bf16_0_0_4v
	.hidden	_Z51ncclDevFunc_AllReduce_RING_SIMPLE_MinMax_bf16_0_1_4v
	.hidden	_Z51ncclDevFunc_AllReduce_RING_SIMPLE_MinMax_bf16_1_0_4v
	.hidden	_Z51ncclDevFunc_AllReduce_RING_SIMPLE_MinMax_bf16_1_1_4v
	.hidden	_Z53ncclDevFunc_AllReduce_RING_SIMPLE_MinMax_f8e4m3_0_0_4v
	.hidden	_Z53ncclDevFunc_AllReduce_RING_SIMPLE_MinMax_f8e4m3_1_0_4v
	.hidden	_Z53ncclDevFunc_AllReduce_RING_SIMPLE_MinMax_f8e5m2_0_0_4v
	.hidden	_Z53ncclDevFunc_AllReduce_RING_SIMPLE_MinMax_f8e5m2_1_0_4v
	.hidden	_Z52ncclDevFunc_AllReduce_RING_SIMPLE_PreMulSum_u8_0_0_4v
	.hidden	_Z52ncclDevFunc_AllReduce_RING_SIMPLE_PreMulSum_u8_1_0_4v
	.hidden	_Z53ncclDevFunc_AllReduce_RING_SIMPLE_PreMulSum_u32_0_0_4v
	.hidden	_Z53ncclDevFunc_AllReduce_RING_SIMPLE_PreMulSum_u32_1_0_4v
	.hidden	_Z53ncclDevFunc_AllReduce_RING_SIMPLE_PreMulSum_u64_0_0_4v
	.hidden	_Z53ncclDevFunc_AllReduce_RING_SIMPLE_PreMulSum_u64_1_0_4v
	.hidden	_Z53ncclDevFunc_AllReduce_RING_SIMPLE_PreMulSum_f16_0_0_4v
	.hidden	_Z53ncclDevFunc_AllReduce_RING_SIMPLE_PreMulSum_f16_1_0_4v
	.hidden	_Z53ncclDevFunc_AllReduce_RING_SIMPLE_PreMulSum_f32_0_0_4v
	.hidden	_Z53ncclDevFunc_AllReduce_RING_SIMPLE_PreMulSum_f32_1_0_4v
	.hidden	_Z53ncclDevFunc_AllReduce_RING_SIMPLE_PreMulSum_f64_0_0_4v
	.hidden	_Z53ncclDevFunc_AllReduce_RING_SIMPLE_PreMulSum_f64_1_0_4v
	.hidden	_Z54ncclDevFunc_AllReduce_RING_SIMPLE_PreMulSum_bf16_0_0_4v
	.hidden	_Z54ncclDevFunc_AllReduce_RING_SIMPLE_PreMulSum_bf16_0_1_4v
	.hidden	_Z54ncclDevFunc_AllReduce_RING_SIMPLE_PreMulSum_bf16_1_0_4v
	.hidden	_Z54ncclDevFunc_AllReduce_RING_SIMPLE_PreMulSum_bf16_1_1_4v
	.hidden	_Z56ncclDevFunc_AllReduce_RING_SIMPLE_PreMulSum_f8e4m3_0_0_4v
	.hidden	_Z56ncclDevFunc_AllReduce_RING_SIMPLE_PreMulSum_f8e4m3_1_0_4v
	.hidden	_Z56ncclDevFunc_AllReduce_RING_SIMPLE_PreMulSum_f8e5m2_0_0_4v
	.hidden	_Z56ncclDevFunc_AllReduce_RING_SIMPLE_PreMulSum_f8e5m2_1_0_4v
	.hidden	_Z53ncclDevFunc_AllReduce_RING_SIMPLE_SumPostDiv_u8_0_0_4v
	.hidden	_Z53ncclDevFunc_AllReduce_RING_SIMPLE_SumPostDiv_u8_1_0_4v
	.hidden	_Z54ncclDevFunc_AllReduce_RING_SIMPLE_SumPostDiv_u32_0_0_4v
	.hidden	_Z54ncclDevFunc_AllReduce_RING_SIMPLE_SumPostDiv_u32_1_0_4v
	.hidden	_Z54ncclDevFunc_AllReduce_RING_SIMPLE_SumPostDiv_u64_0_0_4v
	.hidden	_Z54ncclDevFunc_AllReduce_RING_SIMPLE_SumPostDiv_u64_1_0_4v
	.hidden	_Z45ncclDevFunc_SendRecv_RING_SIMPLE_Sum_i8_0_0_4v
	.hidden	_Z50ncclDevFunc_AlltoAllPivot_RING_SIMPLE_Sum_i8_0_0_4v
	.ident	"AMD clang version 19.0.0git (https://github.com/RadeonOpenCompute/llvm-project roc-6.4.0 25133 c7fe45cf4b819c5991fe208aaa96edf142730f1d)"
	.section	".note.GNU-stack","",@progbits
	.addrsig
	.addrsig_sym __hip_cuid_3856487731533deb
	.amdgpu_metadata
---
amdhsa.kernels:
  - .agpr_count:     0
    .args:
      - .offset:         0
        .size:           4096
        .value_kind:     by_value
      - .offset:         4096
        .size:           4
        .value_kind:     hidden_block_count_x
      - .offset:         4100
        .size:           4
        .value_kind:     hidden_block_count_y
      - .offset:         4104
        .size:           4
        .value_kind:     hidden_block_count_z
      - .offset:         4108
        .size:           2
        .value_kind:     hidden_group_size_x
      - .offset:         4110
        .size:           2
        .value_kind:     hidden_group_size_y
      - .offset:         4112
        .size:           2
        .value_kind:     hidden_group_size_z
      - .offset:         4114
        .size:           2
        .value_kind:     hidden_remainder_x
      - .offset:         4116
        .size:           2
        .value_kind:     hidden_remainder_y
      - .offset:         4118
        .size:           2
        .value_kind:     hidden_remainder_z
      - .offset:         4136
        .size:           8
        .value_kind:     hidden_global_offset_x
      - .offset:         4144
        .size:           8
        .value_kind:     hidden_global_offset_y
      - .offset:         4152
        .size:           8
        .value_kind:     hidden_global_offset_z
      - .offset:         4160
        .size:           2
        .value_kind:     hidden_grid_dims
      - .offset:         4176
        .size:           8
        .value_kind:     hidden_hostcall_buffer
      - .offset:         4184
        .size:           8
        .value_kind:     hidden_multigrid_sync_arg
      - .offset:         4192
        .size:           8
        .value_kind:     hidden_heap_v1
      - .offset:         4200
        .size:           8
        .value_kind:     hidden_default_queue
      - .offset:         4208
        .size:           8
        .value_kind:     hidden_completion_action
      - .offset:         4296
        .size:           8
        .value_kind:     hidden_queue_ptr
    .group_segment_fixed_size: 19744
    .kernarg_segment_align: 16
    .kernarg_segment_size: 4352
    .language:       OpenCL C
    .language_version:
      - 2
      - 0
    .max_flat_workgroup_size: 256
    .name:           _Z23ncclDevKernel_Generic_124ncclDevKernelArgsStorageILm4096EE
    .private_segment_fixed_size: 0
    .sgpr_count:     62
    .sgpr_spill_count: 0
    .symbol:         _Z23ncclDevKernel_Generic_124ncclDevKernelArgsStorageILm4096EE.kd
    .uniform_work_group_size: 1
    .uses_dynamic_stack: true
    .vgpr_count:     94
    .vgpr_spill_count: 0
    .wavefront_size: 64
  - .agpr_count:     0
    .args:
      - .offset:         0
        .size:           4096
        .value_kind:     by_value
      - .offset:         4096
        .size:           4
        .value_kind:     hidden_block_count_x
      - .offset:         4100
        .size:           4
        .value_kind:     hidden_block_count_y
      - .offset:         4104
        .size:           4
        .value_kind:     hidden_block_count_z
      - .offset:         4108
        .size:           2
        .value_kind:     hidden_group_size_x
      - .offset:         4110
        .size:           2
        .value_kind:     hidden_group_size_y
      - .offset:         4112
        .size:           2
        .value_kind:     hidden_group_size_z
      - .offset:         4114
        .size:           2
        .value_kind:     hidden_remainder_x
      - .offset:         4116
        .size:           2
        .value_kind:     hidden_remainder_y
      - .offset:         4118
        .size:           2
        .value_kind:     hidden_remainder_z
      - .offset:         4136
        .size:           8
        .value_kind:     hidden_global_offset_x
      - .offset:         4144
        .size:           8
        .value_kind:     hidden_global_offset_y
      - .offset:         4152
        .size:           8
        .value_kind:     hidden_global_offset_z
      - .offset:         4160
        .size:           2
        .value_kind:     hidden_grid_dims
      - .offset:         4176
        .size:           8
        .value_kind:     hidden_hostcall_buffer
      - .offset:         4184
        .size:           8
        .value_kind:     hidden_multigrid_sync_arg
      - .offset:         4192
        .size:           8
        .value_kind:     hidden_heap_v1
      - .offset:         4200
        .size:           8
        .value_kind:     hidden_default_queue
      - .offset:         4208
        .size:           8
        .value_kind:     hidden_completion_action
      - .offset:         4296
        .size:           8
        .value_kind:     hidden_queue_ptr
    .group_segment_fixed_size: 19744
    .kernarg_segment_align: 16
    .kernarg_segment_size: 4352
    .language:       OpenCL C
    .language_version:
      - 2
      - 0
    .max_flat_workgroup_size: 256
    .name:           _Z23ncclDevKernel_Generic_224ncclDevKernelArgsStorageILm4096EE
    .private_segment_fixed_size: 0
    .sgpr_count:     62
    .sgpr_spill_count: 0
    .symbol:         _Z23ncclDevKernel_Generic_224ncclDevKernelArgsStorageILm4096EE.kd
    .uniform_work_group_size: 1
    .uses_dynamic_stack: true
    .vgpr_count:     94
    .vgpr_spill_count: 0
    .wavefront_size: 64
  - .agpr_count:     0
    .args:
      - .offset:         0
        .size:           4096
        .value_kind:     by_value
      - .offset:         4096
        .size:           4
        .value_kind:     hidden_block_count_x
      - .offset:         4100
        .size:           4
        .value_kind:     hidden_block_count_y
      - .offset:         4104
        .size:           4
        .value_kind:     hidden_block_count_z
      - .offset:         4108
        .size:           2
        .value_kind:     hidden_group_size_x
      - .offset:         4110
        .size:           2
        .value_kind:     hidden_group_size_y
      - .offset:         4112
        .size:           2
        .value_kind:     hidden_group_size_z
      - .offset:         4114
        .size:           2
        .value_kind:     hidden_remainder_x
      - .offset:         4116
        .size:           2
        .value_kind:     hidden_remainder_y
      - .offset:         4118
        .size:           2
        .value_kind:     hidden_remainder_z
      - .offset:         4136
        .size:           8
        .value_kind:     hidden_global_offset_x
      - .offset:         4144
        .size:           8
        .value_kind:     hidden_global_offset_y
      - .offset:         4152
        .size:           8
        .value_kind:     hidden_global_offset_z
      - .offset:         4160
        .size:           2
        .value_kind:     hidden_grid_dims
      - .offset:         4176
        .size:           8
        .value_kind:     hidden_hostcall_buffer
      - .offset:         4184
        .size:           8
        .value_kind:     hidden_multigrid_sync_arg
      - .offset:         4192
        .size:           8
        .value_kind:     hidden_heap_v1
      - .offset:         4200
        .size:           8
        .value_kind:     hidden_default_queue
      - .offset:         4208
        .size:           8
        .value_kind:     hidden_completion_action
      - .offset:         4296
        .size:           8
        .value_kind:     hidden_queue_ptr
    .group_segment_fixed_size: 19744
    .kernarg_segment_align: 16
    .kernarg_segment_size: 4352
    .language:       OpenCL C
    .language_version:
      - 2
      - 0
    .max_flat_workgroup_size: 256
    .name:           _Z23ncclDevKernel_Generic_424ncclDevKernelArgsStorageILm4096EE
    .private_segment_fixed_size: 0
    .sgpr_count:     62
    .sgpr_spill_count: 0
    .symbol:         _Z23ncclDevKernel_Generic_424ncclDevKernelArgsStorageILm4096EE.kd
    .uniform_work_group_size: 1
    .uses_dynamic_stack: true
    .vgpr_count:     94
    .vgpr_spill_count: 0
    .wavefront_size: 64
amdhsa.target:   amdgcn-amd-amdhsa--gfx942
amdhsa.version:
  - 1
  - 2
...

	.end_amdgpu_metadata
